;; amdgpu-corpus repo=ROCm/rocFFT kind=compiled arch=gfx1030 opt=O3
	.text
	.amdgcn_target "amdgcn-amd-amdhsa--gfx1030"
	.amdhsa_code_object_version 6
	.protected	bluestein_single_fwd_len350_dim1_half_op_CI_CI ; -- Begin function bluestein_single_fwd_len350_dim1_half_op_CI_CI
	.globl	bluestein_single_fwd_len350_dim1_half_op_CI_CI
	.p2align	8
	.type	bluestein_single_fwd_len350_dim1_half_op_CI_CI,@function
bluestein_single_fwd_len350_dim1_half_op_CI_CI: ; @bluestein_single_fwd_len350_dim1_half_op_CI_CI
; %bb.0:
	s_load_dwordx4 s[12:15], s[4:5], 0x28
	v_mul_u32_u24_e32 v1, 0x51f, v0
	v_mov_b32_e32 v15, 0
	s_mov_b32 s0, exec_lo
	v_lshrrev_b32_e32 v1, 16, v1
	v_add_nc_u32_e32 v14, s6, v1
	s_waitcnt lgkmcnt(0)
	v_cmpx_gt_u64_e64 s[12:13], v[14:15]
	s_cbranch_execz .LBB0_23
; %bb.1:
	s_clause 0x1
	s_load_dwordx4 s[8:11], s[4:5], 0x18
	s_load_dwordx2 s[6:7], s[4:5], 0x0
	v_mul_lo_u16 v1, v1, 50
	v_sub_nc_u16 v7, v0, v1
	v_and_b32_e32 v33, 0xffff, v7
	v_lshlrev_b32_e32 v30, 2, v33
	s_waitcnt lgkmcnt(0)
	s_load_dwordx4 s[0:3], s[8:9], 0x0
	s_waitcnt lgkmcnt(0)
	v_mad_u64_u32 v[0:1], null, s2, v14, 0
	v_mad_u64_u32 v[2:3], null, s0, v33, 0
	s_mul_hi_u32 s8, s0, 0x46
	s_mul_i32 s2, s0, 0x46
	v_mad_u64_u32 v[4:5], null, s3, v14, v[1:2]
	s_mul_i32 s3, s1, 0x46
	s_add_i32 s3, s8, s3
	s_lshl_b64 s[12:13], s[2:3], 2
	v_mad_u64_u32 v[5:6], null, s1, v33, v[3:4]
	v_mov_b32_e32 v1, v4
	v_lshlrev_b64 v[0:1], 2, v[0:1]
	v_mov_b32_e32 v3, v5
	v_add_co_u32 v0, vcc_lo, s14, v0
	v_lshlrev_b64 v[2:3], 2, v[2:3]
	v_add_co_ci_u32_e32 v1, vcc_lo, s15, v1, vcc_lo
	v_add_co_u32 v12, s14, s6, v30
	v_add_co_ci_u32_e64 v13, null, s7, 0, s14
	v_add_co_u32 v0, vcc_lo, v0, v2
	v_add_co_ci_u32_e32 v1, vcc_lo, v1, v3, vcc_lo
	global_load_dword v6, v[0:1], off
	v_add_co_u32 v0, vcc_lo, v0, s12
	v_add_co_ci_u32_e32 v1, vcc_lo, s13, v1, vcc_lo
	s_clause 0x1
	global_load_dword v36, v30, s[6:7]
	global_load_dword v35, v30, s[6:7] offset:280
	v_add_co_u32 v2, vcc_lo, v0, s12
	global_load_dword v8, v[0:1], off
	v_add_co_ci_u32_e32 v3, vcc_lo, s13, v1, vcc_lo
	v_add_co_u32 v4, vcc_lo, v2, s12
	v_add_co_ci_u32_e32 v5, vcc_lo, s13, v3, vcc_lo
	v_add_co_u32 v0, vcc_lo, v4, s12
	v_add_co_ci_u32_e32 v1, vcc_lo, s13, v5, vcc_lo
	global_load_dword v2, v[2:3], off
	global_load_dword v34, v30, s[6:7] offset:560
	s_clause 0x1
	global_load_dword v3, v[4:5], off
	global_load_dword v4, v[0:1], off
	s_clause 0x1
	global_load_dword v32, v30, s[6:7] offset:840
	global_load_dword v31, v30, s[6:7] offset:1120
	s_load_dwordx2 s[2:3], s[4:5], 0x38
	s_load_dwordx4 s[8:11], s[10:11], 0x0
	v_cmp_gt_u16_e32 vcc_lo, 20, v7
	s_waitcnt vmcnt(9)
	v_lshrrev_b32_e32 v5, 16, v6
	s_waitcnt vmcnt(8)
	v_mul_f16_sdwa v9, v36, v6 dst_sel:DWORD dst_unused:UNUSED_PAD src0_sel:WORD_1 src1_sel:DWORD
	v_mul_f16_sdwa v10, v36, v5 dst_sel:DWORD dst_unused:UNUSED_PAD src0_sel:WORD_1 src1_sel:DWORD
	s_waitcnt vmcnt(6)
	v_lshrrev_b32_e32 v11, 16, v8
	v_mul_f16_sdwa v15, v35, v8 dst_sel:DWORD dst_unused:UNUSED_PAD src0_sel:WORD_1 src1_sel:DWORD
	v_fma_f16 v5, v36, v5, -v9
	v_fmac_f16_e32 v10, v36, v6
	v_mul_f16_sdwa v9, v35, v11 dst_sel:DWORD dst_unused:UNUSED_PAD src0_sel:WORD_1 src1_sel:DWORD
	v_fma_f16 v6, v35, v11, -v15
	s_waitcnt vmcnt(5)
	v_lshrrev_b32_e32 v11, 16, v2
	s_waitcnt vmcnt(4)
	v_mul_f16_sdwa v15, v34, v2 dst_sel:DWORD dst_unused:UNUSED_PAD src0_sel:WORD_1 src1_sel:DWORD
	v_fmac_f16_e32 v9, v35, v8
	s_waitcnt vmcnt(3)
	v_lshrrev_b32_e32 v8, 16, v3
	s_waitcnt vmcnt(2)
	v_lshrrev_b32_e32 v16, 16, v4
	v_mul_f16_sdwa v17, v34, v11 dst_sel:DWORD dst_unused:UNUSED_PAD src0_sel:WORD_1 src1_sel:DWORD
	v_fma_f16 v11, v34, v11, -v15
	s_waitcnt vmcnt(1)
	v_mul_f16_sdwa v15, v32, v3 dst_sel:DWORD dst_unused:UNUSED_PAD src0_sel:WORD_1 src1_sel:DWORD
	v_mul_f16_sdwa v18, v32, v8 dst_sel:DWORD dst_unused:UNUSED_PAD src0_sel:WORD_1 src1_sel:DWORD
	s_waitcnt vmcnt(0)
	v_mul_f16_sdwa v19, v31, v16 dst_sel:DWORD dst_unused:UNUSED_PAD src0_sel:WORD_1 src1_sel:DWORD
	v_mul_f16_sdwa v20, v31, v4 dst_sel:DWORD dst_unused:UNUSED_PAD src0_sel:WORD_1 src1_sel:DWORD
	v_fmac_f16_e32 v17, v34, v2
	v_fma_f16 v2, v32, v8, -v15
	v_fmac_f16_e32 v18, v32, v3
	v_fmac_f16_e32 v19, v31, v4
	v_fma_f16 v3, v31, v16, -v20
	v_pack_b32_f16 v4, v10, v5
	v_pack_b32_f16 v5, v9, v6
	;; [unrolled: 1-line block ×5, first 2 shown]
	ds_write2_b32 v30, v4, v5 offset1:70
	ds_write2_b32 v30, v6, v2 offset0:140 offset1:210
	ds_write_b32 v30, v3 offset:1120
	s_and_saveexec_b32 s14, vcc_lo
	s_cbranch_execz .LBB0_3
; %bb.2:
	v_mad_u64_u32 v[0:1], null, 0xfffffc68, s0, v[0:1]
	s_mulk_i32 s1, 0xfc68
	s_clause 0x1
	global_load_dword v4, v[12:13], off offset:200
	global_load_dword v5, v[12:13], off offset:480
	s_sub_i32 s0, s1, s0
	v_add_nc_u32_e32 v1, s0, v1
	v_add_co_u32 v2, s0, v0, s12
	v_add_co_ci_u32_e64 v3, s0, s13, v1, s0
	global_load_dword v6, v[0:1], off
	v_add_co_u32 v0, s0, v2, s12
	v_add_co_ci_u32_e64 v1, s0, s13, v3, s0
	global_load_dword v7, v[2:3], off
	;; [unrolled: 3-line block ×3, first 2 shown]
	v_add_co_u32 v0, s0, v2, s12
	v_add_co_ci_u32_e64 v1, s0, s13, v3, s0
	global_load_dword v9, v[12:13], off offset:760
	global_load_dword v2, v[2:3], off
	global_load_dword v0, v[0:1], off
	s_clause 0x1
	global_load_dword v1, v[12:13], off offset:1040
	global_load_dword v3, v[12:13], off offset:1320
	s_waitcnt vmcnt(7)
	v_lshrrev_b32_e32 v10, 16, v6
	v_mul_f16_sdwa v11, v4, v6 dst_sel:DWORD dst_unused:UNUSED_PAD src0_sel:WORD_1 src1_sel:DWORD
	v_mul_f16_sdwa v15, v4, v10 dst_sel:DWORD dst_unused:UNUSED_PAD src0_sel:WORD_1 src1_sel:DWORD
	s_waitcnt vmcnt(6)
	v_lshrrev_b32_e32 v16, 16, v7
	v_mul_f16_sdwa v17, v5, v7 dst_sel:DWORD dst_unused:UNUSED_PAD src0_sel:WORD_1 src1_sel:DWORD
	v_fma_f16 v10, v4, v10, -v11
	v_fmac_f16_e32 v15, v4, v6
	v_mul_f16_sdwa v4, v5, v16 dst_sel:DWORD dst_unused:UNUSED_PAD src0_sel:WORD_1 src1_sel:DWORD
	v_fma_f16 v6, v5, v16, -v17
	s_waitcnt vmcnt(5)
	v_lshrrev_b32_e32 v11, 16, v8
	s_waitcnt vmcnt(4)
	v_mul_f16_sdwa v16, v9, v8 dst_sel:DWORD dst_unused:UNUSED_PAD src0_sel:WORD_1 src1_sel:DWORD
	v_pack_b32_f16 v10, v15, v10
	v_fmac_f16_e32 v4, v5, v7
	s_waitcnt vmcnt(3)
	v_lshrrev_b32_e32 v5, 16, v2
	s_waitcnt vmcnt(2)
	v_lshrrev_b32_e32 v7, 16, v0
	v_mul_f16_sdwa v15, v9, v11 dst_sel:DWORD dst_unused:UNUSED_PAD src0_sel:WORD_1 src1_sel:DWORD
	v_fma_f16 v11, v9, v11, -v16
	s_waitcnt vmcnt(1)
	v_mul_f16_sdwa v16, v1, v2 dst_sel:DWORD dst_unused:UNUSED_PAD src0_sel:WORD_1 src1_sel:DWORD
	v_mul_f16_sdwa v17, v1, v5 dst_sel:DWORD dst_unused:UNUSED_PAD src0_sel:WORD_1 src1_sel:DWORD
	s_waitcnt vmcnt(0)
	v_mul_f16_sdwa v18, v3, v7 dst_sel:DWORD dst_unused:UNUSED_PAD src0_sel:WORD_1 src1_sel:DWORD
	v_mul_f16_sdwa v19, v3, v0 dst_sel:DWORD dst_unused:UNUSED_PAD src0_sel:WORD_1 src1_sel:DWORD
	v_fmac_f16_e32 v15, v9, v8
	v_fma_f16 v5, v1, v5, -v16
	v_fmac_f16_e32 v17, v1, v2
	v_fmac_f16_e32 v18, v3, v0
	v_fma_f16 v0, v3, v7, -v19
	v_pack_b32_f16 v1, v4, v6
	v_pack_b32_f16 v2, v15, v11
	;; [unrolled: 1-line block ×3, first 2 shown]
	v_add_nc_u32_e32 v4, 0x200, v30
	v_pack_b32_f16 v0, v18, v0
	ds_write2_b32 v30, v10, v1 offset0:50 offset1:120
	ds_write2_b32 v4, v2, v3 offset0:62 offset1:132
	ds_write_b32 v30, v0 offset:1320
.LBB0_3:
	s_or_b32 exec_lo, exec_lo, s14
	s_waitcnt lgkmcnt(0)
	s_barrier
	buffer_gl0_inv
	ds_read2_b32 v[6:7], v30 offset1:70
	ds_read2_b32 v[4:5], v30 offset0:140 offset1:210
	ds_read_b32 v9, v30 offset:1120
	s_load_dwordx2 s[4:5], s[4:5], 0x8
                                        ; implicit-def: $vgpr0
                                        ; implicit-def: $vgpr3
                                        ; implicit-def: $vgpr8
	s_and_saveexec_b32 s0, vcc_lo
	s_cbranch_execz .LBB0_5
; %bb.4:
	v_add_nc_u32_e32 v0, 0x200, v30
	ds_read2_b32 v[2:3], v30 offset0:50 offset1:120
	ds_read2_b32 v[0:1], v0 offset0:62 offset1:132
	ds_read_b32 v8, v30 offset:1320
.LBB0_5:
	s_or_b32 exec_lo, exec_lo, s0
	s_waitcnt lgkmcnt(0)
	v_pk_add_f16 v10, v0, v1
	v_pk_add_f16 v16, v3, v8 neg_lo:[0,1] neg_hi:[0,1]
	v_pk_add_f16 v11, v3, v8
	v_pk_add_f16 v15, v0, v1 neg_lo:[0,1] neg_hi:[0,1]
	v_pk_add_f16 v17, v0, v3 neg_lo:[0,1] neg_hi:[0,1]
	v_pk_fma_f16 v18, v10, 0.5, v2 op_sel_hi:[1,0,1] neg_lo:[1,0,0] neg_hi:[1,0,0]
	v_pk_mul_f16 v19, 0x3b9c, v16 op_sel_hi:[0,1]
	v_pk_fma_f16 v20, v11, 0.5, v2 op_sel_hi:[1,0,1] neg_lo:[1,0,0] neg_hi:[1,0,0]
	v_pk_mul_f16 v21, 0x3b9c, v15 op_sel_hi:[0,1]
	v_pk_mul_f16 v15, 0x38b4, v15 op_sel_hi:[0,1]
	v_pk_add_f16 v22, v1, v8 neg_lo:[0,1] neg_hi:[0,1]
	v_pk_add_f16 v10, v18, v19 op_sel:[0,1] op_sel_hi:[1,0] neg_lo:[0,1] neg_hi:[0,1]
	v_pk_add_f16 v11, v18, v19 op_sel:[0,1] op_sel_hi:[1,0]
	v_pk_add_f16 v18, v20, v21 op_sel:[0,1] op_sel_hi:[1,0] neg_lo:[0,1] neg_hi:[0,1]
	v_pk_mul_f16 v19, 0x38b4, v16 op_sel_hi:[0,1]
	v_pk_add_f16 v16, v3, v0 neg_lo:[0,1] neg_hi:[0,1]
	v_pk_add_f16 v23, v8, v1 neg_lo:[0,1] neg_hi:[0,1]
	v_pk_add_f16 v24, v10, v15 op_sel:[0,1] op_sel_hi:[1,0] neg_lo:[0,1] neg_hi:[0,1]
	v_pk_add_f16 v25, v11, v15 op_sel:[0,1] op_sel_hi:[1,0]
	v_pk_add_f16 v20, v21, v20 op_sel:[1,0] op_sel_hi:[0,1]
	;; [unrolled: 1-line block ×3, first 2 shown]
	v_pk_add_f16 v17, v17, v22
	v_pk_add_f16 v16, v16, v23
	v_bfi_b32 v21, 0xffff, v24, v25
	v_pk_add_f16 v19, v20, v19 op_sel:[0,1] op_sel_hi:[1,0] neg_lo:[0,1] neg_hi:[0,1]
	v_pk_add_f16 v24, v4, v5
	v_pk_fma_f16 v18, 0x34f2, v17, v18 op_sel_hi:[0,1,1]
	v_pk_add_f16 v25, v7, v9 neg_lo:[0,1] neg_hi:[0,1]
	v_pk_fma_f16 v20, 0x34f2, v16, v21 op_sel_hi:[0,1,1]
	v_pk_fma_f16 v19, 0x34f2, v17, v19 op_sel_hi:[0,1,1]
	v_mul_lo_u16 v17, v33, 5
	v_mov_b32_e32 v21, 2
	v_pk_add_f16 v26, v7, v9
	v_pk_add_f16 v23, v6, v7
	v_pk_add_f16 v29, v7, v4 neg_lo:[0,1] neg_hi:[0,1]
	v_add_co_u32 v22, null, v33, 50
	v_lshlrev_b32_sdwa v37, v21, v17 dst_sel:DWORD dst_unused:UNUSED_PAD src0_sel:DWORD src1_sel:WORD_0
	v_pk_add_f16 v17, v4, v5 neg_lo:[0,1] neg_hi:[0,1]
	v_pk_fma_f16 v21, v24, 0.5, v6 op_sel_hi:[1,0,1] neg_lo:[1,0,0] neg_hi:[1,0,0]
	v_pk_mul_f16 v24, 0x3b9c, v25 op_sel_hi:[0,1]
	v_pk_fma_f16 v6, v26, 0.5, v6 op_sel_hi:[1,0,1] neg_lo:[1,0,0] neg_hi:[1,0,0]
	v_pk_mul_f16 v25, 0x38b4, v25 op_sel_hi:[0,1]
	v_pk_mul_f16 v28, 0x38b4, v17 op_sel_hi:[0,1]
	;; [unrolled: 1-line block ×3, first 2 shown]
	v_pk_add_f16 v38, v21, v24 op_sel:[0,1] op_sel_hi:[1,0]
	v_pk_add_f16 v21, v21, v24 op_sel:[0,1] op_sel_hi:[1,0] neg_lo:[0,1] neg_hi:[0,1]
	v_pk_add_f16 v23, v23, v4
	v_pk_add_f16 v26, v9, v5 neg_lo:[0,1] neg_hi:[0,1]
	v_pk_add_f16 v4, v4, v7 neg_lo:[0,1] neg_hi:[0,1]
	v_pk_add_f16 v24, v38, v28 op_sel:[0,1] op_sel_hi:[1,0]
	v_pk_add_f16 v38, v6, v17 op_sel:[0,1] op_sel_hi:[1,0] neg_lo:[0,1] neg_hi:[0,1]
	v_pk_add_f16 v6, v6, v17 op_sel:[0,1] op_sel_hi:[1,0]
	v_pk_add_f16 v17, v21, v28 op_sel:[0,1] op_sel_hi:[1,0] neg_lo:[0,1] neg_hi:[0,1]
	v_pk_add_f16 v7, v5, v9 neg_lo:[0,1] neg_hi:[0,1]
	v_pk_add_f16 v5, v23, v5
	v_pk_add_f16 v21, v38, v25 op_sel:[0,1] op_sel_hi:[1,0]
	v_pk_add_f16 v6, v6, v25 op_sel:[0,1] op_sel_hi:[1,0] neg_lo:[0,1] neg_hi:[0,1]
	v_pk_add_f16 v23, v29, v26
	v_bfi_b32 v25, 0xffff, v24, v17
	v_pk_add_f16 v4, v4, v7
	v_bfi_b32 v17, 0xffff, v17, v24
	v_bfi_b32 v7, 0xffff, v21, v6
	;; [unrolled: 1-line block ×3, first 2 shown]
	v_lshrrev_b32_e32 v27, 16, v18
	v_pk_add_f16 v5, v5, v9
	v_pk_fma_f16 v9, 0x34f2, v23, v25 op_sel_hi:[0,1,1]
	v_mul_u32_u24_e32 v38, 5, v22
	v_pk_fma_f16 v7, 0x34f2, v4, v7 op_sel_hi:[0,1,1]
	v_pk_fma_f16 v4, 0x34f2, v4, v6 op_sel_hi:[0,1,1]
	v_pk_fma_f16 v6, 0x34f2, v23, v17 op_sel_hi:[0,1,1]
	s_barrier
	buffer_gl0_inv
	ds_write2_b32 v37, v5, v9 offset1:1
	ds_write2_b32 v37, v7, v4 offset0:2 offset1:3
	ds_write_b32 v37, v6 offset:16
	s_and_saveexec_b32 s0, vcc_lo
	s_cbranch_execz .LBB0_7
; %bb.6:
	v_pk_add_f16 v2, v2, v3
	v_alignbit_b32 v3, v15, v15, 16
	v_pk_mul_f16 v4, 0x34f2, v16 op_sel_hi:[0,1]
	v_perm_b32 v5, v27, v19, 0x5040100
	v_pk_add_f16 v0, v2, v0
	v_pk_add_f16 v2, v11, v3
	v_pk_add_f16 v3, v10, v3 neg_lo:[0,1] neg_hi:[0,1]
	v_pk_add_f16 v0, v0, v1
	v_bfi_b32 v1, 0xffff, v2, v3
	v_lshlrev_b32_e32 v2, 2, v38
	v_bfi_b32 v3, 0xffff, v18, v19
	v_pk_add_f16 v0, v0, v8
	v_pk_add_f16 v1, v4, v1
	ds_write2_b32 v2, v3, v5 offset0:2 offset1:3
	ds_write2_b32 v2, v0, v1 offset1:1
	ds_write_b32 v2, v20 offset:16
.LBB0_7:
	s_or_b32 exec_lo, exec_lo, s0
	v_and_b32_e32 v0, 0xff, v33
	s_waitcnt lgkmcnt(0)
	s_barrier
	buffer_gl0_inv
	v_mov_b32_e32 v21, 35
	v_mul_lo_u16 v0, 0xcd, v0
	v_cmp_gt_u16_e64 s0, 35, v33
	v_lshrrev_b16 v10, 10, v0
	v_mul_lo_u16 v0, v10, 5
	v_mul_u32_u24_sdwa v10, v10, v21 dst_sel:DWORD dst_unused:UNUSED_PAD src0_sel:WORD_0 src1_sel:DWORD
	v_sub_nc_u16 v0, v33, v0
	v_and_b32_e32 v11, 0xff, v0
	v_mul_u32_u24_e32 v0, 6, v11
	v_add_lshl_u32 v39, v10, v11, 2
	v_lshlrev_b32_e32 v4, 2, v0
	s_clause 0x1
	global_load_dwordx4 v[0:3], v4, s[4:5]
	global_load_dwordx2 v[15:16], v4, s[4:5] offset:16
	ds_read2_b32 v[4:5], v30 offset1:50
	ds_read2_b32 v[6:7], v30 offset0:100 offset1:150
	ds_read2_b32 v[8:9], v30 offset0:200 offset1:250
	ds_read_b32 v17, v30 offset:1200
	s_waitcnt vmcnt(0) lgkmcnt(0)
	s_barrier
	buffer_gl0_inv
	v_lshrrev_b32_e32 v21, 16, v5
	v_lshrrev_b32_e32 v22, 16, v6
	;; [unrolled: 1-line block ×6, first 2 shown]
	v_mul_f16_sdwa v10, v21, v0 dst_sel:DWORD dst_unused:UNUSED_PAD src0_sel:DWORD src1_sel:WORD_1
	v_mul_f16_sdwa v11, v5, v0 dst_sel:DWORD dst_unused:UNUSED_PAD src0_sel:DWORD src1_sel:WORD_1
	;; [unrolled: 1-line block ×12, first 2 shown]
	v_fma_f16 v5, v5, v0, -v10
	v_fmac_f16_e32 v11, v21, v0
	v_fma_f16 v6, v6, v1, -v28
	v_fmac_f16_e32 v29, v22, v1
	;; [unrolled: 2-line block ×6, first 2 shown]
	v_add_f16_e32 v17, v5, v10
	v_add_f16_e32 v21, v11, v47
	v_sub_f16_e32 v5, v5, v10
	v_sub_f16_e32 v10, v11, v47
	v_add_f16_e32 v11, v6, v9
	v_add_f16_e32 v22, v29, v45
	v_sub_f16_e32 v6, v6, v9
	v_sub_f16_e32 v9, v29, v45
	;; [unrolled: 4-line block ×4, first 2 shown]
	v_sub_f16_e32 v17, v17, v23
	v_sub_f16_e32 v21, v21, v24
	;; [unrolled: 1-line block ×4, first 2 shown]
	v_add_f16_e32 v28, v7, v6
	v_add_f16_e32 v41, v8, v9
	v_sub_f16_e32 v42, v7, v6
	v_sub_f16_e32 v43, v8, v9
	;; [unrolled: 1-line block ×3, first 2 shown]
	v_add_f16_e32 v23, v23, v25
	v_add_f16_e32 v24, v24, v26
	v_sub_f16_e32 v6, v6, v5
	v_sub_f16_e32 v7, v5, v7
	;; [unrolled: 1-line block ×3, first 2 shown]
	v_add_f16_e32 v5, v28, v5
	v_add_f16_e32 v10, v41, v10
	v_mul_f16_e32 v17, 0x3a52, v17
	v_mul_f16_e32 v25, 0x3a52, v21
	;; [unrolled: 1-line block ×7, first 2 shown]
	v_add_f16_e32 v21, v4, v23
	v_add_f16_sdwa v28, v4, v24 dst_sel:DWORD dst_unused:UNUSED_PAD src0_sel:WORD_1 src1_sel:DWORD
	v_mul_f16_e32 v44, 0x3b00, v6
	v_fmamk_f16 v4, v11, 0x2b26, v17
	v_fmamk_f16 v11, v22, 0x2b26, v25
	v_fma_f16 v22, v29, 0x39e0, -v26
	v_fma_f16 v26, v40, 0x39e0, -v41
	;; [unrolled: 1-line block ×3, first 2 shown]
	v_fmamk_f16 v40, v7, 0x3574, v42
	v_fmamk_f16 v46, v8, 0x3574, v43
	v_fma_f16 v9, v9, 0x3b00, -v43
	v_fma_f16 v8, v8, 0xb574, -v45
	v_fmamk_f16 v23, v23, 0xbcab, v21
	v_fmamk_f16 v24, v24, 0xbcab, v28
	v_fma_f16 v17, v29, 0xb9e0, -v17
	v_fma_f16 v6, v6, 0x3b00, -v42
	;; [unrolled: 1-line block ×3, first 2 shown]
	v_fmac_f16_e32 v40, 0x370e, v5
	v_fmac_f16_e32 v46, 0x370e, v10
	;; [unrolled: 1-line block ×4, first 2 shown]
	v_add_f16_e32 v4, v4, v23
	v_add_f16_e32 v10, v11, v24
	v_fmac_f16_e32 v6, 0x370e, v5
	v_fmac_f16_e32 v7, 0x370e, v5
	v_add_f16_e32 v11, v22, v23
	v_add_f16_e32 v17, v17, v23
	;; [unrolled: 1-line block ×5, first 2 shown]
	v_sub_f16_e32 v29, v10, v40
	v_add_f16_e32 v23, v8, v17
	v_sub_f16_e32 v41, v44, v7
	v_sub_f16_e32 v24, v11, v9
	v_add_f16_e32 v42, v6, v26
	v_add_f16_e32 v25, v9, v11
	v_sub_f16_e32 v43, v26, v6
	v_sub_f16_e32 v26, v17, v8
	v_add_f16_e32 v44, v7, v44
	v_sub_f16_e32 v17, v4, v46
	v_add_f16_e32 v45, v40, v10
	v_pack_b32_f16 v5, v21, v28
	v_pack_b32_f16 v4, v22, v29
	;; [unrolled: 1-line block ×7, first 2 shown]
	ds_write2_b32 v39, v5, v4 offset1:5
	ds_write2_b32 v39, v6, v7 offset0:10 offset1:15
	ds_write2_b32 v39, v8, v9 offset0:20 offset1:25
	ds_write_b32 v39, v10 offset:120
	s_waitcnt lgkmcnt(0)
	s_barrier
	buffer_gl0_inv
	s_and_saveexec_b32 s1, s0
	s_cbranch_execz .LBB0_9
; %bb.8:
	v_add_nc_u32_e32 v4, 0x400, v30
	ds_read2_b32 v[21:22], v30 offset1:35
	ds_read2_b32 v[23:24], v30 offset0:70 offset1:105
	ds_read2_b32 v[25:26], v30 offset0:140 offset1:175
	;; [unrolled: 1-line block ×4, first 2 shown]
	s_waitcnt lgkmcnt(4)
	v_lshrrev_b32_e32 v28, 16, v21
	v_lshrrev_b32_e32 v29, 16, v22
	s_waitcnt lgkmcnt(3)
	v_lshrrev_b32_e32 v41, 16, v23
	v_lshrrev_b32_e32 v42, 16, v24
	;; [unrolled: 3-line block ×3, first 2 shown]
	s_waitcnt lgkmcnt(1)
	v_lshrrev_b32_e32 v45, 16, v17
	s_waitcnt lgkmcnt(0)
	v_lshrrev_b32_e32 v27, 16, v19
	v_bfi_b32 v19, 0xffff, v19, v18
.LBB0_9:
	s_or_b32 exec_lo, exec_lo, s1
	v_subrev_nc_u32_e32 v4, 35, v33
	v_cndmask_b32_e64 v4, v4, v33, s0
	v_mul_i32_i24_e32 v5, 36, v4
	v_mul_hi_i32_i24_e32 v4, 36, v4
	v_add_co_u32 v46, s1, s4, v5
	v_add_co_ci_u32_e64 v47, s1, s5, v4, s1
	s_clause 0x2
	global_load_dwordx4 v[4:7], v[46:47], off offset:120
	global_load_dwordx4 v[8:11], v[46:47], off offset:136
	global_load_dword v40, v[46:47], off offset:152
	v_lshrrev_b32_e32 v46, 16, v19
	v_lshrrev_b32_e32 v47, 16, v20
	s_waitcnt vmcnt(2)
	v_mul_f16_sdwa v48, v29, v4 dst_sel:DWORD dst_unused:UNUSED_PAD src0_sel:DWORD src1_sel:WORD_1
	v_mul_f16_sdwa v52, v22, v4 dst_sel:DWORD dst_unused:UNUSED_PAD src0_sel:DWORD src1_sel:WORD_1
	v_mul_f16_sdwa v49, v41, v5 dst_sel:DWORD dst_unused:UNUSED_PAD src0_sel:DWORD src1_sel:WORD_1
	v_mul_f16_sdwa v50, v23, v5 dst_sel:DWORD dst_unused:UNUSED_PAD src0_sel:DWORD src1_sel:WORD_1
	v_mul_f16_sdwa v51, v42, v6 dst_sel:DWORD dst_unused:UNUSED_PAD src0_sel:DWORD src1_sel:WORD_1
	v_mul_f16_sdwa v53, v24, v6 dst_sel:DWORD dst_unused:UNUSED_PAD src0_sel:DWORD src1_sel:WORD_1
	v_mul_f16_sdwa v54, v43, v7 dst_sel:DWORD dst_unused:UNUSED_PAD src0_sel:DWORD src1_sel:WORD_1
	v_mul_f16_sdwa v55, v25, v7 dst_sel:DWORD dst_unused:UNUSED_PAD src0_sel:DWORD src1_sel:WORD_1
	s_waitcnt vmcnt(1)
	v_mul_f16_sdwa v56, v44, v8 dst_sel:DWORD dst_unused:UNUSED_PAD src0_sel:DWORD src1_sel:WORD_1
	v_mul_f16_sdwa v57, v26, v8 dst_sel:DWORD dst_unused:UNUSED_PAD src0_sel:DWORD src1_sel:WORD_1
	;; [unrolled: 1-line block ×8, first 2 shown]
	s_waitcnt vmcnt(0)
	v_mul_f16_sdwa v64, v47, v40 dst_sel:DWORD dst_unused:UNUSED_PAD src0_sel:DWORD src1_sel:WORD_1
	v_mul_f16_sdwa v65, v20, v40 dst_sel:DWORD dst_unused:UNUSED_PAD src0_sel:DWORD src1_sel:WORD_1
	v_fma_f16 v66, v22, v4, -v48
	v_fmac_f16_e32 v52, v29, v4
	v_fma_f16 v22, v23, v5, -v49
	v_fmac_f16_e32 v50, v41, v5
	;; [unrolled: 2-line block ×9, first 2 shown]
	v_add_f16_e32 v17, v21, v22
	v_add_f16_e32 v18, v24, v26
	v_sub_f16_e32 v43, v50, v63
	v_sub_f16_e32 v20, v22, v24
	;; [unrolled: 1-line block ×3, first 2 shown]
	v_add_f16_e32 v47, v28, v50
	v_add_f16_e32 v48, v55, v59
	v_sub_f16_e32 v51, v50, v55
	v_add_f16_e32 v56, v50, v63
	v_sub_f16_e32 v50, v55, v50
	v_sub_f16_e32 v58, v59, v63
	v_add_f16_e32 v62, v25, v41
	v_add_f16_e32 v70, v23, v42
	;; [unrolled: 1-line block ×5, first 2 shown]
	v_sub_f16_e32 v45, v24, v22
	v_sub_f16_e32 v49, v24, v26
	v_add_f16_e32 v60, v66, v23
	v_sub_f16_e32 v64, v53, v65
	v_sub_f16_e32 v67, v57, v61
	;; [unrolled: 1-line block ×6, first 2 shown]
	v_add_f16_e32 v24, v17, v24
	v_add_f16_e32 v80, v20, v27
	v_fma_f16 v17, -0.5, v18, v21
	v_add_f16_e32 v27, v47, v55
	v_fma_f16 v18, -0.5, v48, v28
	v_fmac_f16_e32 v28, -0.5, v56
	v_add_f16_e32 v50, v50, v58
	v_fma_f16 v58, -0.5, v62, v66
	v_fmac_f16_e32 v66, -0.5, v70
	;; [unrolled: 3-line block ×3, first 2 shown]
	v_sub_f16_e32 v44, v55, v59
	v_add_f16_e32 v29, v22, v19
	v_sub_f16_e32 v46, v26, v19
	v_sub_f16_e32 v54, v63, v59
	;; [unrolled: 1-line block ×8, first 2 shown]
	v_add_f16_e32 v25, v60, v25
	v_add_f16_e32 v48, v27, v59
	v_fmamk_f16 v57, v64, 0x3b9c, v58
	v_fmac_f16_e32 v58, 0xbb9c, v64
	v_fmamk_f16 v59, v67, 0xbb9c, v66
	v_fmac_f16_e32 v66, 0x3b9c, v67
	v_add_f16_e32 v60, v47, v61
	v_fmamk_f16 v61, v23, 0xbb9c, v56
	v_fmac_f16_e32 v56, 0x3b9c, v23
	v_fmamk_f16 v62, v75, 0x3b9c, v52
	v_fmac_f16_e32 v52, 0xbb9c, v75
	v_sub_f16_e32 v22, v22, v19
	v_fmac_f16_e32 v21, -0.5, v29
	v_add_f16_e32 v45, v45, v46
	v_add_f16_e32 v46, v51, v54
	;; [unrolled: 1-line block ×6, first 2 shown]
	v_fmamk_f16 v29, v49, 0x3b9c, v28
	v_fmac_f16_e32 v28, 0xbb9c, v49
	v_fmac_f16_e32 v57, 0x38b4, v67
	;; [unrolled: 1-line block ×9, first 2 shown]
	v_add_f16_e32 v24, v24, v26
	v_fmamk_f16 v20, v43, 0x3b9c, v17
	v_fmac_f16_e32 v17, 0xbb9c, v43
	v_fmamk_f16 v26, v44, 0xbb9c, v21
	v_fmac_f16_e32 v21, 0x3b9c, v44
	;; [unrolled: 2-line block ×3, first 2 shown]
	v_add_f16_e32 v25, v25, v41
	v_fmac_f16_e32 v29, 0xb8b4, v22
	v_fmac_f16_e32 v28, 0x38b4, v22
	;; [unrolled: 1-line block ×10, first 2 shown]
	v_add_f16_e32 v41, v24, v19
	v_fmac_f16_e32 v20, 0x38b4, v44
	v_fmac_f16_e32 v17, 0xb8b4, v44
	;; [unrolled: 1-line block ×4, first 2 shown]
	v_add_f16_e32 v47, v48, v63
	v_fmac_f16_e32 v27, 0xb8b4, v49
	v_fmac_f16_e32 v18, 0x38b4, v49
	v_add_f16_e32 v48, v25, v42
	v_fmac_f16_e32 v29, 0x34f2, v50
	v_fmac_f16_e32 v28, 0x34f2, v50
	v_mul_f16_e32 v50, 0x38b4, v61
	v_mul_f16_e32 v51, 0x3b9c, v62
	;; [unrolled: 1-line block ×8, first 2 shown]
	v_add_f16_e32 v49, v60, v65
	v_fmac_f16_e32 v20, 0x34f2, v80
	v_fmac_f16_e32 v17, 0x34f2, v80
	;; [unrolled: 1-line block ×8, first 2 shown]
	v_fma_f16 v52, v52, 0x3b9c, -v19
	v_fma_f16 v53, v56, 0x38b4, -v23
	v_fmac_f16_e32 v54, 0x3a79, v61
	v_fmac_f16_e32 v55, 0x34f2, v62
	v_fma_f16 v56, v66, 0xbb9c, -v24
	v_fma_f16 v57, v58, 0xb8b4, -v25
	v_sub_f16_e32 v22, v41, v48
	v_sub_f16_e32 v42, v47, v49
	;; [unrolled: 1-line block ×10, first 2 shown]
	s_and_saveexec_b32 s1, s0
	s_cbranch_execz .LBB0_11
; %bb.10:
	v_add_f16_e32 v27, v27, v54
	v_add_f16_e32 v47, v47, v49
	;; [unrolled: 1-line block ×10, first 2 shown]
	v_pack_b32_f16 v41, v41, v47
	v_pack_b32_f16 v20, v20, v27
	;; [unrolled: 1-line block ×5, first 2 shown]
	v_perm_b32 v18, v42, v22, 0x5040100
	v_perm_b32 v27, v46, v23, 0x5040100
	;; [unrolled: 1-line block ×5, first 2 shown]
	v_add_nc_u32_e32 v48, 0x400, v30
	ds_write2_b32 v30, v41, v20 offset1:35
	ds_write2_b32 v30, v26, v21 offset0:70 offset1:105
	ds_write2_b32 v30, v17, v18 offset0:140 offset1:175
	;; [unrolled: 1-line block ×4, first 2 shown]
.LBB0_11:
	s_or_b32 exec_lo, exec_lo, s1
	s_add_u32 s4, s6, 0x578
	s_addc_u32 s5, s7, 0
	s_waitcnt lgkmcnt(0)
	s_barrier
	buffer_gl0_inv
	s_clause 0x4
	global_load_dword v20, v[12:13], off offset:1400
	global_load_dword v21, v30, s[4:5] offset:280
	global_load_dword v26, v30, s[4:5] offset:560
	;; [unrolled: 1-line block ×4, first 2 shown]
	ds_read2_b32 v[17:18], v30 offset1:70
	s_waitcnt lgkmcnt(0)
	v_lshrrev_b32_e32 v29, 16, v17
	v_lshrrev_b32_e32 v41, 16, v18
	s_waitcnt vmcnt(4)
	v_mul_f16_sdwa v47, v29, v20 dst_sel:DWORD dst_unused:UNUSED_PAD src0_sel:DWORD src1_sel:WORD_1
	v_mul_f16_sdwa v48, v17, v20 dst_sel:DWORD dst_unused:UNUSED_PAD src0_sel:DWORD src1_sel:WORD_1
	s_waitcnt vmcnt(3)
	v_mul_f16_sdwa v49, v41, v21 dst_sel:DWORD dst_unused:UNUSED_PAD src0_sel:DWORD src1_sel:WORD_1
	v_mul_f16_sdwa v50, v18, v21 dst_sel:DWORD dst_unused:UNUSED_PAD src0_sel:DWORD src1_sel:WORD_1
	v_fma_f16 v17, v17, v20, -v47
	v_fmac_f16_e32 v48, v29, v20
	v_fma_f16 v18, v18, v21, -v49
	v_fmac_f16_e32 v50, v41, v21
	v_pack_b32_f16 v17, v17, v48
	v_pack_b32_f16 v18, v18, v50
	ds_write2_b32 v30, v17, v18 offset1:70
	ds_read2_b32 v[17:18], v30 offset0:140 offset1:210
	ds_read_b32 v20, v30 offset:1120
	s_waitcnt lgkmcnt(1)
	v_lshrrev_b32_e32 v21, 16, v17
	s_waitcnt vmcnt(2)
	v_mul_f16_sdwa v29, v17, v26 dst_sel:DWORD dst_unused:UNUSED_PAD src0_sel:DWORD src1_sel:WORD_1
	v_lshrrev_b32_e32 v41, 16, v18
	s_waitcnt lgkmcnt(0)
	v_lshrrev_b32_e32 v48, 16, v20
	s_waitcnt vmcnt(1)
	v_mul_f16_sdwa v47, v18, v27 dst_sel:DWORD dst_unused:UNUSED_PAD src0_sel:DWORD src1_sel:WORD_1
	v_mul_f16_sdwa v50, v21, v26 dst_sel:DWORD dst_unused:UNUSED_PAD src0_sel:DWORD src1_sel:WORD_1
	v_fmac_f16_e32 v29, v21, v26
	v_mul_f16_sdwa v21, v41, v27 dst_sel:DWORD dst_unused:UNUSED_PAD src0_sel:DWORD src1_sel:WORD_1
	s_waitcnt vmcnt(0)
	v_mul_f16_sdwa v49, v20, v28 dst_sel:DWORD dst_unused:UNUSED_PAD src0_sel:DWORD src1_sel:WORD_1
	v_mul_f16_sdwa v51, v48, v28 dst_sel:DWORD dst_unused:UNUSED_PAD src0_sel:DWORD src1_sel:WORD_1
	v_fmac_f16_e32 v47, v41, v27
	v_fma_f16 v17, v17, v26, -v50
	v_fma_f16 v18, v18, v27, -v21
	v_fmac_f16_e32 v49, v48, v28
	v_fma_f16 v20, v20, v28, -v51
	v_pack_b32_f16 v17, v17, v29
	v_pack_b32_f16 v18, v18, v47
	;; [unrolled: 1-line block ×3, first 2 shown]
	ds_write2_b32 v30, v17, v18 offset0:140 offset1:210
	ds_write_b32 v30, v20 offset:1120
	s_and_saveexec_b32 s1, vcc_lo
	s_cbranch_execz .LBB0_13
; %bb.12:
	v_add_co_u32 v17, s4, s4, v30
	v_add_co_ci_u32_e64 v18, null, s5, 0, s4
	v_add_nc_u32_e32 v47, 0x200, v30
	s_clause 0x4
	global_load_dword v26, v[17:18], off offset:200
	global_load_dword v27, v[17:18], off offset:480
	;; [unrolled: 1-line block ×5, first 2 shown]
	ds_read2_b32 v[17:18], v30 offset0:50 offset1:120
	ds_read_b32 v48, v30 offset:1320
	ds_read2_b32 v[20:21], v47 offset0:62 offset1:132
	s_waitcnt lgkmcnt(2)
	v_lshrrev_b32_e32 v49, 16, v17
	v_lshrrev_b32_e32 v50, 16, v18
	s_waitcnt lgkmcnt(0)
	v_lshrrev_b32_e32 v52, 16, v20
	v_lshrrev_b32_e32 v53, 16, v21
	;; [unrolled: 1-line block ×3, first 2 shown]
	s_waitcnt vmcnt(4)
	v_mul_f16_sdwa v54, v49, v26 dst_sel:DWORD dst_unused:UNUSED_PAD src0_sel:DWORD src1_sel:WORD_1
	v_mul_f16_sdwa v55, v17, v26 dst_sel:DWORD dst_unused:UNUSED_PAD src0_sel:DWORD src1_sel:WORD_1
	s_waitcnt vmcnt(3)
	v_mul_f16_sdwa v56, v50, v27 dst_sel:DWORD dst_unused:UNUSED_PAD src0_sel:DWORD src1_sel:WORD_1
	v_mul_f16_sdwa v57, v18, v27 dst_sel:DWORD dst_unused:UNUSED_PAD src0_sel:DWORD src1_sel:WORD_1
	s_waitcnt vmcnt(2)
	v_mul_f16_sdwa v58, v52, v28 dst_sel:DWORD dst_unused:UNUSED_PAD src0_sel:DWORD src1_sel:WORD_1
	v_mul_f16_sdwa v59, v20, v28 dst_sel:DWORD dst_unused:UNUSED_PAD src0_sel:DWORD src1_sel:WORD_1
	s_waitcnt vmcnt(1)
	v_mul_f16_sdwa v60, v53, v29 dst_sel:DWORD dst_unused:UNUSED_PAD src0_sel:DWORD src1_sel:WORD_1
	v_mul_f16_sdwa v61, v21, v29 dst_sel:DWORD dst_unused:UNUSED_PAD src0_sel:DWORD src1_sel:WORD_1
	s_waitcnt vmcnt(0)
	v_mul_f16_sdwa v62, v51, v41 dst_sel:DWORD dst_unused:UNUSED_PAD src0_sel:DWORD src1_sel:WORD_1
	v_mul_f16_sdwa v63, v48, v41 dst_sel:DWORD dst_unused:UNUSED_PAD src0_sel:DWORD src1_sel:WORD_1
	v_fma_f16 v17, v17, v26, -v54
	v_fmac_f16_e32 v55, v49, v26
	v_fma_f16 v18, v18, v27, -v56
	v_fmac_f16_e32 v57, v50, v27
	;; [unrolled: 2-line block ×5, first 2 shown]
	v_pack_b32_f16 v17, v17, v55
	v_pack_b32_f16 v18, v18, v57
	;; [unrolled: 1-line block ×5, first 2 shown]
	ds_write2_b32 v30, v17, v18 offset0:50 offset1:120
	ds_write2_b32 v47, v20, v21 offset0:62 offset1:132
	ds_write_b32 v30, v26 offset:1320
.LBB0_13:
	s_or_b32 exec_lo, exec_lo, s1
	s_waitcnt lgkmcnt(0)
	s_barrier
	buffer_gl0_inv
	ds_read2_b32 v[28:29], v30 offset1:70
	ds_read2_b32 v[26:27], v30 offset0:140 offset1:210
	ds_read_b32 v48, v30 offset:1120
	s_and_saveexec_b32 s1, vcc_lo
	s_cbranch_execz .LBB0_15
; %bb.14:
	v_add_nc_u32_e32 v17, 0x200, v30
	ds_read2_b32 v[22:23], v30 offset0:50 offset1:120
	ds_read2_b32 v[24:25], v17 offset0:62 offset1:132
	ds_read_b32 v19, v30 offset:1320
	s_waitcnt lgkmcnt(2)
	v_lshrrev_b32_e32 v42, 16, v22
	v_lshrrev_b32_e32 v46, 16, v23
	s_waitcnt lgkmcnt(1)
	v_lshrrev_b32_e32 v45, 16, v24
	v_lshrrev_b32_e32 v44, 16, v25
	s_waitcnt lgkmcnt(0)
	v_lshrrev_b32_e32 v43, 16, v19
.LBB0_15:
	s_or_b32 exec_lo, exec_lo, s1
	v_add_f16_e32 v17, v24, v25
	v_add_f16_e32 v18, v23, v19
	v_sub_f16_e32 v20, v23, v24
	v_sub_f16_e32 v21, v19, v25
	;; [unrolled: 1-line block ×3, first 2 shown]
	v_fma_f16 v49, -0.5, v17, v22
	v_sub_f16_e32 v41, v24, v23
	v_fma_f16 v17, -0.5, v18, v22
	v_sub_f16_e32 v47, v25, v19
	v_add_f16_e32 v52, v20, v21
	v_add_f16_e32 v21, v46, v43
	v_sub_f16_e32 v50, v46, v43
	v_fmamk_f16 v20, v51, 0x3b9c, v17
	v_add_f16_e32 v58, v41, v47
	v_fmac_f16_e32 v17, 0xbb9c, v51
	v_sub_f16_e32 v54, v24, v25
	v_fma_f16 v47, -0.5, v21, v42
	v_fmac_f16_e32 v20, 0xb8b4, v50
	v_sub_f16_e32 v56, v23, v19
	v_fmac_f16_e32 v17, 0x38b4, v50
	v_sub_f16_e32 v55, v46, v45
	v_sub_f16_e32 v59, v43, v44
	v_fmamk_f16 v41, v54, 0xbb9c, v47
	v_sub_f16_e32 v60, v45, v46
	v_sub_f16_e32 v61, v44, v43
	v_fmac_f16_e32 v47, 0x3b9c, v54
	v_add_f16_e32 v55, v55, v59
	v_fmac_f16_e32 v41, 0x38b4, v56
	v_fmac_f16_e32 v20, 0x34f2, v58
	v_add_f16_e32 v59, v60, v61
	v_fmac_f16_e32 v17, 0x34f2, v58
	v_fmac_f16_e32 v47, 0xb8b4, v56
	s_waitcnt lgkmcnt(1)
	v_pk_add_f16 v58, v26, v27
	s_waitcnt lgkmcnt(0)
	v_pk_add_f16 v60, v29, v48 neg_lo:[0,1] neg_hi:[0,1]
	v_fmac_f16_e32 v41, 0x34f2, v59
	v_pk_add_f16 v62, v29, v48
	v_fmac_f16_e32 v47, 0x34f2, v59
	v_pk_add_f16 v59, v26, v27 neg_lo:[0,1] neg_hi:[0,1]
	v_pk_fma_f16 v58, v58, 0.5, v28 op_sel_hi:[1,0,1] neg_lo:[1,0,0] neg_hi:[1,0,0]
	v_pk_mul_f16 v61, 0x3b9c, v60 op_sel_hi:[0,1]
	v_add_f16_e32 v53, v45, v44
	v_pk_add_f16 v57, v28, v29
	v_pk_mul_f16 v63, 0x38b4, v59 op_sel_hi:[0,1]
	v_pk_fma_f16 v28, v62, 0.5, v28 op_sel_hi:[1,0,1] neg_lo:[1,0,0] neg_hi:[1,0,0]
	v_pk_add_f16 v65, v58, v61 op_sel:[0,1] op_sel_hi:[1,0] neg_lo:[0,1] neg_hi:[0,1]
	v_pk_mul_f16 v59, 0x3b9c, v59 op_sel_hi:[0,1]
	v_fma_f16 v53, -0.5, v53, v42
	v_pk_add_f16 v58, v58, v61 op_sel:[0,1] op_sel_hi:[1,0]
	v_pk_mul_f16 v60, 0x38b4, v60 op_sel_hi:[0,1]
	v_pk_add_f16 v61, v65, v63 op_sel:[0,1] op_sel_hi:[1,0] neg_lo:[0,1] neg_hi:[0,1]
	v_pk_add_f16 v65, v28, v59 op_sel:[0,1] op_sel_hi:[1,0]
	v_pk_add_f16 v28, v28, v59 op_sel:[0,1] op_sel_hi:[1,0] neg_lo:[0,1] neg_hi:[0,1]
	v_fmamk_f16 v18, v50, 0x3b9c, v49
	v_fmamk_f16 v21, v56, 0xbb9c, v53
	v_pk_add_f16 v57, v57, v26
	v_pk_add_f16 v64, v29, v26 neg_lo:[0,1] neg_hi:[0,1]
	v_pk_add_f16 v62, v48, v27 neg_lo:[0,1] neg_hi:[0,1]
	v_pk_add_f16 v58, v58, v63 op_sel:[0,1] op_sel_hi:[1,0]
	v_pk_add_f16 v26, v26, v29 neg_lo:[0,1] neg_hi:[0,1]
	v_pk_add_f16 v29, v27, v48 neg_lo:[0,1] neg_hi:[0,1]
	v_pk_add_f16 v59, v65, v60 op_sel:[0,1] op_sel_hi:[1,0] neg_lo:[0,1] neg_hi:[0,1]
	v_pk_add_f16 v28, v28, v60 op_sel:[0,1] op_sel_hi:[1,0]
	v_fmac_f16_e32 v18, 0x38b4, v51
	v_fmac_f16_e32 v21, 0xb8b4, v54
	v_pk_add_f16 v27, v57, v27
	v_pk_add_f16 v57, v64, v62
	v_bfi_b32 v60, 0xffff, v61, v58
	v_pk_add_f16 v26, v26, v29
	v_bfi_b32 v29, 0xffff, v59, v28
	v_bfi_b32 v28, 0xffff, v28, v59
	;; [unrolled: 1-line block ×3, first 2 shown]
	v_fmac_f16_e32 v18, 0x34f2, v52
	v_fmac_f16_e32 v21, 0x34f2, v55
	v_pk_add_f16 v27, v27, v48
	v_pk_fma_f16 v48, 0x34f2, v57, v60 op_sel_hi:[0,1,1]
	v_pk_fma_f16 v29, 0x34f2, v26, v29 op_sel_hi:[0,1,1]
	;; [unrolled: 1-line block ×4, first 2 shown]
	s_barrier
	buffer_gl0_inv
	ds_write2_b32 v37, v27, v48 offset1:1
	ds_write2_b32 v37, v29, v26 offset0:2 offset1:3
	ds_write_b32 v37, v28 offset:16
	s_and_saveexec_b32 s1, vcc_lo
	s_cbranch_execz .LBB0_17
; %bb.16:
	v_mul_f16_e32 v26, 0x3b9c, v50
	v_mul_f16_e32 v28, 0x3b9c, v56
	v_add_f16_e32 v29, v42, v46
	v_add_f16_e32 v22, v22, v23
	v_mul_f16_e32 v27, 0x38b4, v51
	v_mul_f16_e32 v23, 0x38b4, v54
	v_add_f16_e32 v28, v28, v53
	v_add_f16_e32 v29, v29, v45
	v_sub_f16_e32 v26, v49, v26
	v_add_f16_e32 v22, v22, v24
	v_mul_f16_e32 v37, 0x34f2, v52
	v_mul_f16_e32 v24, 0x34f2, v55
	v_add_f16_e32 v23, v23, v28
	v_add_f16_e32 v28, v29, v44
	v_sub_f16_e32 v26, v26, v27
	v_add_f16_e32 v22, v22, v25
	v_add_f16_e32 v23, v24, v23
	;; [unrolled: 1-line block ×5, first 2 shown]
	v_lshlrev_b32_e32 v22, 2, v38
	v_perm_b32 v26, v21, v18, 0x5040100
	v_pack_b32_f16 v23, v25, v23
	v_pack_b32_f16 v19, v19, v24
	v_perm_b32 v24, v47, v17, 0x5040100
	v_perm_b32 v25, v41, v20, 0x5040100
	ds_write2_b32 v22, v19, v23 offset1:1
	ds_write2_b32 v22, v25, v24 offset0:2 offset1:3
	ds_write_b32 v22, v26 offset:16
.LBB0_17:
	s_or_b32 exec_lo, exec_lo, s1
	s_waitcnt lgkmcnt(0)
	s_barrier
	buffer_gl0_inv
	ds_read2_b32 v[22:23], v30 offset1:50
	ds_read2_b32 v[24:25], v30 offset0:100 offset1:150
	ds_read2_b32 v[26:27], v30 offset0:200 offset1:250
	ds_read_b32 v19, v30 offset:1200
	s_waitcnt lgkmcnt(0)
	s_barrier
	buffer_gl0_inv
	v_lshrrev_b32_e32 v28, 16, v23
	v_lshrrev_b32_e32 v29, 16, v24
	;; [unrolled: 1-line block ×4, first 2 shown]
	v_mul_f16_sdwa v44, v0, v23 dst_sel:DWORD dst_unused:UNUSED_PAD src0_sel:WORD_1 src1_sel:DWORD
	v_mul_f16_sdwa v50, v0, v28 dst_sel:DWORD dst_unused:UNUSED_PAD src0_sel:WORD_1 src1_sel:DWORD
	v_lshrrev_b32_e32 v37, 16, v25
	v_lshrrev_b32_e32 v38, 16, v26
	v_mul_f16_sdwa v45, v1, v24 dst_sel:DWORD dst_unused:UNUSED_PAD src0_sel:WORD_1 src1_sel:DWORD
	v_mul_f16_sdwa v46, v2, v25 dst_sel:DWORD dst_unused:UNUSED_PAD src0_sel:WORD_1 src1_sel:DWORD
	;; [unrolled: 1-line block ×3, first 2 shown]
	v_fma_f16 v28, v0, v28, -v44
	v_mul_f16_sdwa v44, v1, v29 dst_sel:DWORD dst_unused:UNUSED_PAD src0_sel:WORD_1 src1_sel:DWORD
	v_mul_f16_sdwa v51, v15, v42 dst_sel:DWORD dst_unused:UNUSED_PAD src0_sel:WORD_1 src1_sel:DWORD
	;; [unrolled: 1-line block ×3, first 2 shown]
	v_fmac_f16_e32 v50, v0, v23
	v_mul_f16_sdwa v0, v15, v27 dst_sel:DWORD dst_unused:UNUSED_PAD src0_sel:WORD_1 src1_sel:DWORD
	v_mul_f16_sdwa v48, v3, v26 dst_sel:DWORD dst_unused:UNUSED_PAD src0_sel:WORD_1 src1_sel:DWORD
	v_fma_f16 v29, v1, v29, -v45
	v_mul_f16_sdwa v45, v2, v37 dst_sel:DWORD dst_unused:UNUSED_PAD src0_sel:WORD_1 src1_sel:DWORD
	v_fma_f16 v37, v2, v37, -v46
	v_mul_f16_sdwa v46, v3, v38 dst_sel:DWORD dst_unused:UNUSED_PAD src0_sel:WORD_1 src1_sel:DWORD
	v_fmac_f16_e32 v44, v1, v24
	v_fmac_f16_e32 v52, v16, v19
	v_fma_f16 v1, v16, v43, -v49
	v_fmac_f16_e32 v51, v15, v27
	v_fma_f16 v0, v15, v42, -v0
	v_fmac_f16_e32 v45, v2, v25
	v_fmac_f16_e32 v46, v3, v26
	v_fma_f16 v2, v3, v38, -v48
	v_add_f16_e32 v3, v50, v52
	v_add_f16_e32 v15, v28, v1
	;; [unrolled: 1-line block ×4, first 2 shown]
	v_sub_f16_e32 v1, v28, v1
	v_sub_f16_e32 v24, v44, v51
	;; [unrolled: 1-line block ×3, first 2 shown]
	v_add_f16_e32 v25, v45, v46
	v_add_f16_e32 v26, v37, v2
	v_sub_f16_e32 v27, v46, v45
	v_sub_f16_e32 v2, v2, v37
	v_add_f16_e32 v28, v19, v3
	v_add_f16_e32 v29, v23, v15
	v_sub_f16_e32 v16, v50, v52
	v_sub_f16_e32 v37, v19, v3
	;; [unrolled: 1-line block ×7, first 2 shown]
	v_add_f16_e32 v42, v27, v24
	v_add_f16_e32 v43, v2, v0
	v_sub_f16_e32 v44, v27, v24
	v_sub_f16_e32 v45, v2, v0
	v_add_f16_e32 v25, v25, v28
	v_add_f16_e32 v26, v26, v29
	v_sub_f16_e32 v24, v24, v16
	v_sub_f16_e32 v28, v0, v1
	;; [unrolled: 1-line block ×4, first 2 shown]
	v_add_f16_e32 v16, v42, v16
	v_add_f16_e32 v1, v43, v1
	;; [unrolled: 1-line block ×3, first 2 shown]
	v_add_f16_sdwa v22, v22, v26 dst_sel:DWORD dst_unused:UNUSED_PAD src0_sel:WORD_1 src1_sel:DWORD
	v_mul_f16_e32 v3, 0x3a52, v3
	v_mul_f16_e32 v15, 0x3a52, v15
	;; [unrolled: 1-line block ×8, first 2 shown]
	v_fmamk_f16 v25, v25, 0xbcab, v0
	v_fmamk_f16 v26, v26, 0xbcab, v22
	;; [unrolled: 1-line block ×4, first 2 shown]
	v_fma_f16 v29, v37, 0x39e0, -v29
	v_fma_f16 v42, v38, 0x39e0, -v42
	;; [unrolled: 1-line block ×4, first 2 shown]
	v_fmamk_f16 v37, v27, 0xb574, v43
	v_fmamk_f16 v38, v2, 0xb574, v44
	v_fma_f16 v43, v24, 0xbb00, -v43
	v_fma_f16 v44, v28, 0xbb00, -v44
	;; [unrolled: 1-line block ×4, first 2 shown]
	v_add_f16_e32 v19, v19, v25
	v_add_f16_e32 v46, v23, v26
	v_fmac_f16_e32 v37, 0xb70e, v16
	v_fmac_f16_e32 v38, 0xb70e, v1
	v_add_f16_e32 v29, v29, v25
	v_add_f16_e32 v42, v42, v26
	;; [unrolled: 1-line block ×4, first 2 shown]
	v_fmac_f16_e32 v43, 0xb70e, v16
	v_fmac_f16_e32 v45, 0xb70e, v1
	;; [unrolled: 1-line block ×4, first 2 shown]
	v_add_f16_e32 v1, v38, v19
	v_sub_f16_e32 v23, v46, v37
	v_add_f16_e32 v2, v45, v25
	v_sub_f16_e32 v28, v48, v27
	v_sub_f16_e32 v3, v29, v44
	v_add_f16_e32 v24, v43, v42
	v_add_f16_e32 v15, v44, v29
	v_sub_f16_e32 v26, v42, v43
	v_sub_f16_e32 v16, v25, v45
	v_add_f16_e32 v25, v27, v48
	v_sub_f16_e32 v19, v19, v38
	v_add_f16_e32 v27, v37, v46
	v_pack_b32_f16 v29, v0, v22
	v_pack_b32_f16 v37, v1, v23
	v_pack_b32_f16 v38, v2, v28
	v_pack_b32_f16 v42, v3, v24
	v_pack_b32_f16 v43, v15, v26
	v_pack_b32_f16 v44, v16, v25
	v_pack_b32_f16 v45, v19, v27
	ds_write2_b32 v39, v29, v37 offset1:5
	ds_write2_b32 v39, v38, v42 offset0:10 offset1:15
	ds_write2_b32 v39, v43, v44 offset0:20 offset1:25
	ds_write_b32 v39, v45 offset:120
	s_waitcnt lgkmcnt(0)
	s_barrier
	buffer_gl0_inv
	s_and_saveexec_b32 s1, s0
	s_cbranch_execz .LBB0_19
; %bb.18:
	v_add_nc_u32_e32 v17, 0x400, v30
	ds_read2_b32 v[0:1], v30 offset1:35
	ds_read2_b32 v[2:3], v30 offset0:70 offset1:105
	ds_read2_b32 v[15:16], v30 offset0:140 offset1:175
	;; [unrolled: 1-line block ×4, first 2 shown]
	s_waitcnt lgkmcnt(4)
	v_lshrrev_b32_e32 v22, 16, v0
	v_lshrrev_b32_e32 v23, 16, v1
	s_waitcnt lgkmcnt(3)
	v_lshrrev_b32_e32 v28, 16, v2
	v_lshrrev_b32_e32 v24, 16, v3
	;; [unrolled: 3-line block ×5, first 2 shown]
.LBB0_19:
	s_or_b32 exec_lo, exec_lo, s1
	s_and_saveexec_b32 s1, s0
	s_cbranch_execz .LBB0_21
; %bb.20:
	v_mul_f16_sdwa v29, v7, v15 dst_sel:DWORD dst_unused:UNUSED_PAD src0_sel:WORD_1 src1_sel:DWORD
	v_mul_f16_sdwa v37, v9, v19 dst_sel:DWORD dst_unused:UNUSED_PAD src0_sel:WORD_1 src1_sel:DWORD
	;; [unrolled: 1-line block ×5, first 2 shown]
	v_fma_f16 v29, v7, v26, -v29
	v_fma_f16 v37, v9, v27, -v37
	v_mul_f16_sdwa v42, v5, v28 dst_sel:DWORD dst_unused:UNUSED_PAD src0_sel:WORD_1 src1_sel:DWORD
	v_fma_f16 v28, v5, v28, -v38
	v_fma_f16 v38, v11, v47, -v39
	v_fmac_f16_e32 v43, v11, v17
	v_add_f16_e32 v39, v37, v29
	v_mul_f16_sdwa v17, v7, v26 dst_sel:DWORD dst_unused:UNUSED_PAD src0_sel:WORD_1 src1_sel:DWORD
	v_mul_f16_sdwa v26, v9, v27 dst_sel:DWORD dst_unused:UNUSED_PAD src0_sel:WORD_1 src1_sel:DWORD
	;; [unrolled: 1-line block ×3, first 2 shown]
	v_fmac_f16_e32 v42, v5, v2
	v_fma_f16 v11, -0.5, v39, v22
	v_mul_f16_sdwa v39, v6, v24 dst_sel:DWORD dst_unused:UNUSED_PAD src0_sel:WORD_1 src1_sel:DWORD
	v_fmac_f16_e32 v17, v7, v15
	v_mul_f16_sdwa v7, v40, v21 dst_sel:DWORD dst_unused:UNUSED_PAD src0_sel:WORD_1 src1_sel:DWORD
	v_fmac_f16_e32 v26, v9, v19
	v_fmac_f16_e32 v44, v8, v16
	;; [unrolled: 1-line block ×3, first 2 shown]
	v_mul_f16_sdwa v9, v10, v41 dst_sel:DWORD dst_unused:UNUSED_PAD src0_sel:WORD_1 src1_sel:DWORD
	v_mul_f16_sdwa v15, v8, v16 dst_sel:DWORD dst_unused:UNUSED_PAD src0_sel:WORD_1 src1_sel:DWORD
	v_fmac_f16_e32 v7, v40, v18
	v_mul_f16_sdwa v16, v10, v20 dst_sel:DWORD dst_unused:UNUSED_PAD src0_sel:WORD_1 src1_sel:DWORD
	v_mul_f16_sdwa v19, v4, v23 dst_sel:DWORD dst_unused:UNUSED_PAD src0_sel:WORD_1 src1_sel:DWORD
	v_fmac_f16_e32 v9, v10, v20
	v_fma_f16 v8, v8, v25, -v15
	v_mul_f16_sdwa v15, v4, v1 dst_sel:DWORD dst_unused:UNUSED_PAD src0_sel:WORD_1 src1_sel:DWORD
	v_fma_f16 v10, v10, v41, -v16
	v_fmac_f16_e32 v19, v4, v1
	v_mul_f16_sdwa v1, v6, v3 dst_sel:DWORD dst_unused:UNUSED_PAD src0_sel:WORD_1 src1_sel:DWORD
	v_mul_f16_sdwa v3, v40, v18 dst_sel:DWORD dst_unused:UNUSED_PAD src0_sel:WORD_1 src1_sel:DWORD
	v_add_f16_e32 v50, v39, v7
	v_add_f16_e32 v16, v44, v9
	v_sub_f16_e32 v45, v8, v10
	v_fma_f16 v1, v6, v24, -v1
	v_fma_f16 v3, v40, v21, -v3
	v_fma_f16 v50, -0.5, v50, v19
	v_fma_f16 v4, v4, v23, -v15
	v_add_f16_e32 v15, v8, v10
	v_fma_f16 v16, -0.5, v16, v19
	v_sub_f16_e32 v20, v1, v3
	v_fmamk_f16 v57, v45, 0xbb9c, v50
	v_fmac_f16_e32 v50, 0x3b9c, v45
	v_sub_f16_e32 v27, v42, v43
	v_fma_f16 v15, -0.5, v15, v4
	v_sub_f16_e32 v18, v39, v7
	v_sub_f16_e32 v21, v1, v8
	;; [unrolled: 1-line block ×3, first 2 shown]
	v_fmamk_f16 v41, v20, 0x3b9c, v16
	v_add_f16_e32 v49, v1, v3
	v_fmac_f16_e32 v57, 0x38b4, v20
	v_fmac_f16_e32 v50, 0xb8b4, v20
	;; [unrolled: 1-line block ×3, first 2 shown]
	v_add_f16_e32 v20, v28, v22
	v_sub_f16_e32 v2, v28, v29
	v_sub_f16_e32 v5, v38, v37
	v_fmamk_f16 v24, v18, 0xbb9c, v15
	v_sub_f16_e32 v25, v44, v9
	v_add_f16_e32 v21, v21, v23
	v_fmamk_f16 v23, v27, 0xbb9c, v11
	v_sub_f16_e32 v46, v17, v26
	v_fma_f16 v49, -0.5, v49, v4
	v_sub_f16_e32 v54, v8, v1
	v_fmac_f16_e32 v15, 0x3b9c, v18
	v_add_f16_e32 v1, v1, v4
	v_fmac_f16_e32 v11, 0x3b9c, v27
	v_add_f16_e32 v4, v29, v20
	v_add_f16_e32 v47, v38, v28
	v_fmac_f16_e32 v24, 0xb8b4, v25
	v_add_f16_e32 v2, v5, v2
	v_fmac_f16_e32 v23, 0xb8b4, v46
	v_fmac_f16_e32 v15, 0x38b4, v25
	;; [unrolled: 1-line block ×3, first 2 shown]
	v_add_f16_e32 v4, v37, v4
	v_fma_f16 v47, -0.5, v47, v22
	v_fmac_f16_e32 v24, 0x34f2, v21
	v_fmac_f16_e32 v23, 0x34f2, v2
	;; [unrolled: 1-line block ×4, first 2 shown]
	v_add_f16_e32 v2, v38, v4
	v_add_f16_e32 v4, v26, v17
	;; [unrolled: 1-line block ×3, first 2 shown]
	v_sub_f16_e32 v52, v44, v39
	v_sub_f16_e32 v53, v9, v7
	;; [unrolled: 1-line block ×3, first 2 shown]
	v_fmamk_f16 v56, v25, 0x3b9c, v49
	v_fmamk_f16 v58, v46, 0x3b9c, v47
	v_fmac_f16_e32 v49, 0xbb9c, v25
	v_fmac_f16_e32 v47, 0xbb9c, v46
	v_sub_f16_e32 v6, v39, v44
	v_sub_f16_e32 v40, v7, v9
	v_fma_f16 v4, -0.5, v4, v0
	v_sub_f16_e32 v22, v28, v38
	v_fma_f16 v21, -0.5, v21, v0
	v_add_f16_e32 v0, v42, v0
	v_add_f16_e32 v19, v39, v19
	;; [unrolled: 1-line block ×4, first 2 shown]
	v_fmac_f16_e32 v56, 0xb8b4, v18
	v_fmac_f16_e32 v58, 0xb8b4, v27
	;; [unrolled: 1-line block ×4, first 2 shown]
	v_sub_f16_e32 v27, v29, v37
	v_add_f16_e32 v6, v6, v40
	v_fmac_f16_e32 v41, 0x38b4, v45
	v_sub_f16_e32 v48, v29, v28
	v_sub_f16_e32 v51, v37, v38
	v_fmac_f16_e32 v16, 0xb8b4, v45
	v_add_f16_e32 v1, v8, v1
	v_sub_f16_e32 v25, v42, v17
	v_sub_f16_e32 v28, v43, v26
	v_fmamk_f16 v29, v22, 0x3b9c, v4
	v_sub_f16_e32 v37, v17, v42
	v_fmac_f16_e32 v4, 0xbb9c, v22
	v_add_f16_e32 v0, v17, v0
	v_add_f16_e32 v17, v44, v19
	v_fmac_f16_e32 v56, 0x34f2, v53
	v_fmac_f16_e32 v49, 0x34f2, v53
	v_sub_f16_e32 v38, v26, v43
	v_fmamk_f16 v45, v27, 0xbb9c, v21
	v_fmac_f16_e32 v21, 0x3b9c, v27
	v_fmac_f16_e32 v41, 0x34f2, v6
	;; [unrolled: 1-line block ×3, first 2 shown]
	v_mul_f16_e32 v6, 0x3a79, v15
	v_add_f16_e32 v1, v10, v1
	v_add_f16_e32 v25, v28, v25
	v_fmac_f16_e32 v4, 0xb8b4, v27
	v_mul_f16_e32 v15, 0xb8b4, v15
	v_add_f16_e32 v0, v26, v0
	v_add_f16_e32 v9, v9, v17
	v_mul_f16_e32 v5, 0xba79, v24
	v_add_f16_e32 v48, v51, v48
	v_fmac_f16_e32 v57, 0x34f2, v52
	v_mul_f16_e32 v51, 0xb4f2, v56
	v_fmac_f16_e32 v50, 0x34f2, v52
	v_mul_f16_e32 v18, 0x34f2, v49
	v_add_f16_e32 v28, v38, v37
	v_fmac_f16_e32 v45, 0x38b4, v22
	v_mul_f16_e32 v37, 0xbb9c, v56
	v_fmac_f16_e32 v21, 0xb8b4, v22
	v_mul_f16_e32 v19, 0xbb9c, v49
	;; [unrolled: 2-line block ×3, first 2 shown]
	v_fmac_f16_e32 v6, 0x38b4, v16
	v_add_f16_e32 v1, v3, v1
	v_fmac_f16_e32 v4, 0x34f2, v25
	v_fmac_f16_e32 v15, 0x3a79, v16
	v_add_f16_e32 v0, v43, v0
	v_add_f16_e32 v7, v7, v9
	v_fmac_f16_e32 v5, 0x38b4, v41
	v_fmac_f16_e32 v58, 0x34f2, v48
	;; [unrolled: 1-line block ×11, first 2 shown]
	v_sub_f16_e32 v10, v11, v6
	v_sub_f16_e32 v20, v2, v1
	;; [unrolled: 1-line block ×3, first 2 shown]
	v_add_f16_e32 v6, v11, v6
	v_add_f16_e32 v1, v2, v1
	;; [unrolled: 1-line block ×4, first 2 shown]
	v_sub_f16_e32 v40, v23, v5
	v_sub_f16_e32 v8, v47, v18
	;; [unrolled: 1-line block ×3, first 2 shown]
	v_add_f16_e32 v5, v23, v5
	v_add_f16_e32 v23, v58, v51
	;; [unrolled: 1-line block ×6, first 2 shown]
	v_sub_f16_e32 v17, v21, v19
	v_sub_f16_e32 v3, v58, v51
	;; [unrolled: 1-line block ×4, first 2 shown]
	v_pack_b32_f16 v0, v0, v1
	v_pack_b32_f16 v1, v2, v6
	;; [unrolled: 1-line block ×10, first 2 shown]
	v_add_nc_u32_e32 v10, 0x400, v30
	ds_write2_b32 v30, v0, v1 offset1:35
	ds_write2_b32 v30, v2, v4 offset0:70 offset1:105
	ds_write2_b32 v30, v5, v6 offset0:140 offset1:175
	;; [unrolled: 1-line block ×4, first 2 shown]
.LBB0_21:
	s_or_b32 exec_lo, exec_lo, s1
	s_waitcnt lgkmcnt(0)
	s_barrier
	buffer_gl0_inv
	ds_read2_b32 v[0:1], v30 offset1:70
	ds_read2_b32 v[2:3], v30 offset0:140 offset1:210
	s_mov_b32 s4, 0xe434a9b1
	s_mov_b32 s5, 0x3f6767dc
	s_waitcnt lgkmcnt(1)
	v_lshrrev_b32_e32 v4, 16, v0
	v_mul_f16_sdwa v5, v36, v0 dst_sel:DWORD dst_unused:UNUSED_PAD src0_sel:WORD_1 src1_sel:DWORD
	v_lshrrev_b32_e32 v6, 16, v1
	v_mul_f16_sdwa v7, v35, v1 dst_sel:DWORD dst_unused:UNUSED_PAD src0_sel:WORD_1 src1_sel:DWORD
	s_waitcnt lgkmcnt(0)
	v_lshrrev_b32_e32 v22, 16, v2
	v_mul_f16_sdwa v9, v36, v4 dst_sel:DWORD dst_unused:UNUSED_PAD src0_sel:WORD_1 src1_sel:DWORD
	v_fma_f16 v8, v36, v4, -v5
	v_mul_f16_sdwa v15, v35, v6 dst_sel:DWORD dst_unused:UNUSED_PAD src0_sel:WORD_1 src1_sel:DWORD
	v_fma_f16 v7, v35, v6, -v7
	v_mad_u64_u32 v[4:5], null, s10, v14, 0
	v_cvt_f32_f16_e32 v8, v8
	v_fmac_f16_e32 v9, v36, v0
	v_cvt_f32_f16_e32 v0, v7
	v_fmac_f16_e32 v15, v35, v1
	v_mul_f16_sdwa v17, v34, v22 dst_sel:DWORD dst_unused:UNUSED_PAD src0_sel:WORD_1 src1_sel:DWORD
	v_cvt_f64_f32_e32 v[6:7], v8
	v_cvt_f32_f16_e32 v16, v9
	v_cvt_f64_f32_e32 v[10:11], v0
	v_mad_u64_u32 v[8:9], null, s8, v33, 0
	v_fmac_f16_e32 v17, v34, v2
	v_cvt_f64_f32_e32 v[0:1], v16
	v_cvt_f32_f16_e32 v16, v15
	v_mul_f16_sdwa v2, v34, v2 dst_sel:DWORD dst_unused:UNUSED_PAD src0_sel:WORD_1 src1_sel:DWORD
	v_fma_f16 v2, v34, v22, -v2
	v_cvt_f32_f16_e32 v2, v2
	v_mad_u64_u32 v[14:15], null, s11, v14, v[5:6]
	v_cvt_f64_f32_e32 v[15:16], v16
	v_mul_f64 v[6:7], v[6:7], s[4:5]
	v_cvt_f32_f16_e32 v5, v17
	v_mad_u64_u32 v[17:18], null, s9, v33, v[9:10]
	v_mul_f64 v[10:11], v[10:11], s[4:5]
	v_mul_f64 v[20:21], v[0:1], s[4:5]
	v_cvt_f64_f32_e32 v[18:19], v5
	v_mov_b32_e32 v5, v14
	v_mov_b32_e32 v9, v17
	v_lshlrev_b64 v[4:5], 2, v[4:5]
	v_lshlrev_b64 v[0:1], 2, v[8:9]
	v_add_co_u32 v8, s0, s2, v4
	v_add_co_ci_u32_e64 v9, s0, s3, v5, s0
	v_mul_f64 v[4:5], v[15:16], s[4:5]
	v_and_or_b32 v6, 0x1ff, v7, v6
	v_add_co_u32 v0, s0, v8, v0
	v_add_co_ci_u32_e64 v1, s0, v9, v1, s0
	v_and_or_b32 v10, 0x1ff, v11, v10
	v_cmp_ne_u32_e64 s0, 0, v6
	v_mul_f64 v[8:9], v[18:19], s[4:5]
	v_and_or_b32 v18, 0x1ff, v21, v20
	v_bfe_u32 v15, v7, 20, 11
	v_lshrrev_b32_e32 v19, 8, v21
	v_cndmask_b32_e64 v6, 0, 1, s0
	v_cmp_ne_u32_e64 s0, 0, v10
	v_bfe_u32 v20, v21, 20, 11
	v_lshrrev_b32_e32 v14, 8, v7
	v_lshrrev_b32_e32 v16, 8, v11
	v_sub_nc_u32_e32 v22, 0x3f1, v15
	v_cndmask_b32_e64 v10, 0, 1, s0
	v_cmp_ne_u32_e64 s0, 0, v18
	v_sub_nc_u32_e32 v26, 0x3f1, v20
	v_and_or_b32 v6, 0xffe, v14, v6
	v_and_or_b32 v4, 0x1ff, v5, v4
	v_bfe_u32 v24, v5, 20, 11
	v_cndmask_b32_e64 v18, 0, 1, s0
	v_lshrrev_b32_e32 v23, 8, v5
	v_med3_i32 v14, v22, 0, 13
	v_cmp_ne_u32_e64 s0, 0, v4
	v_add_nc_u32_e32 v22, 0xfffffc10, v24
	v_and_or_b32 v18, 0xffe, v19, v18
	v_sub_nc_u32_e32 v19, 0x3f1, v24
	v_and_or_b32 v10, 0xffe, v16, v10
	v_cndmask_b32_e64 v4, 0, 1, s0
	v_med3_i32 v16, v26, 0, 13
	v_or_b32_e32 v24, 0x1000, v18
	v_or_b32_e32 v26, 0x1000, v6
	v_add_nc_u32_e32 v15, 0xfffffc10, v15
	v_and_or_b32 v4, 0xffe, v23, v4
	v_cmp_ne_u32_e64 s0, 0, v6
	v_lshrrev_b32_e32 v23, v16, v24
	v_lshrrev_b32_e32 v28, v14, v26
	v_lshl_or_b32 v27, v15, 12, v6
	v_add_nc_u32_e32 v20, 0xfffffc10, v20
	v_cndmask_b32_e64 v6, 0, 1, s0
	v_lshlrev_b32_e32 v16, v16, v23
	v_lshlrev_b32_e32 v14, v14, v28
	v_med3_i32 v19, v19, 0, 13
	v_or_b32_e32 v29, 0x1000, v4
	v_lshl_or_b32 v34, v20, 12, v18
	v_cmp_ne_u32_e64 s0, v16, v24
	v_lshl_or_b32 v24, v22, 12, v4
	v_bfe_u32 v17, v11, 20, 11
	v_lshrrev_b32_e32 v35, v19, v29
	v_or_b32_e32 v33, 0x1000, v10
	v_cndmask_b32_e64 v16, 0, 1, s0
	v_cmp_ne_u32_e64 s0, v14, v26
	v_sub_nc_u32_e32 v25, 0x3f1, v17
	v_lshlrev_b32_e32 v19, v19, v35
	v_lshrrev_b32_e32 v21, 16, v21
	v_or_b32_e32 v16, v23, v16
	v_cndmask_b32_e64 v14, 0, 1, s0
	v_cmp_ne_u32_e64 s0, 0, v18
	v_med3_i32 v25, v25, 0, 13
	v_lshl_or_b32 v6, v6, 9, 0x7c00
	v_lshrrev_b32_e32 v7, 16, v7
	v_or_b32_e32 v14, v28, v14
	v_cndmask_b32_e64 v18, 0, 1, s0
	v_cmp_gt_i32_e64 s0, 1, v20
	v_and_or_b32 v8, 0x1ff, v9, v8
	v_lshrrev_b32_e32 v11, 16, v11
	v_lshl_or_b32 v18, v18, 9, 0x7c00
	v_cndmask_b32_e64 v16, v34, v16, s0
	v_cmp_gt_i32_e64 s0, 1, v15
	v_and_b32_e32 v23, 7, v16
	v_cndmask_b32_e64 v14, v27, v14, s0
	v_cmp_ne_u32_e64 s0, v19, v29
	v_lshrrev_b32_e32 v16, 2, v16
	v_cmp_eq_u32_e64 s1, 3, v23
	v_and_b32_e32 v26, 7, v14
	v_cndmask_b32_e64 v19, 0, 1, s0
	v_cmp_lt_i32_e64 s0, 5, v23
	v_lshrrev_b32_e32 v14, 2, v14
	v_cmp_lt_i32_e64 s2, 5, v26
	v_cmp_eq_u32_e64 s3, 3, v26
	s_or_b32 s0, s1, s0
	v_or_b32_e32 v19, v35, v19
	v_add_co_ci_u32_e64 v16, s0, 0, v16, s0
	s_or_b32 s0, s3, s2
	v_add_co_ci_u32_e64 v14, s0, 0, v14, s0
	v_cmp_gt_i32_e64 s0, 31, v20
	v_cndmask_b32_e64 v16, 0x7c00, v16, s0
	v_cmp_gt_i32_e64 s0, 1, v22
	v_cndmask_b32_e64 v19, v24, v19, s0
	;; [unrolled: 2-line block ×3, first 2 shown]
	v_cmp_eq_u32_e64 s0, 0x40f, v20
	v_and_b32_e32 v20, 7, v19
	v_cndmask_b32_e64 v16, v16, v18, s0
	v_cmp_eq_u32_e64 s0, 0x40f, v15
	v_lshrrev_b32_e32 v18, v25, v33
	v_cmp_eq_u32_e64 s1, 3, v20
	v_add_nc_u32_e32 v15, 0xfffffc10, v17
	v_cndmask_b32_e64 v6, v14, v6, s0
	v_and_or_b32 v14, 0x8000, v21, v16
	v_lshlrev_b32_e32 v16, v25, v18
	v_cmp_lt_i32_e64 s0, 5, v20
	v_lshrrev_b32_e32 v20, 16, v5
	v_and_or_b32 v6, 0x8000, v7, v6
	v_and_b32_e32 v7, 0xffff, v14
	v_lshrrev_b32_e32 v14, 2, v19
	v_cmp_ne_u32_e64 s2, v16, v33
	s_or_b32 s0, s1, s0
	v_lshl_or_b32 v17, v6, 16, v7
	v_add_co_ci_u32_e64 v14, s0, 0, v14, s0
	v_cndmask_b32_e64 v16, 0, 1, s2
	v_cmp_ne_u32_e64 s0, 0, v4
	v_cvt_f64_f32_e32 v[6:7], v2
	s_mul_i32 s2, s8, 0x46
	v_or_b32_e32 v16, v18, v16
	v_lshl_or_b32 v18, v15, 12, v10
	v_cndmask_b32_e64 v4, 0, 1, s0
	v_cmp_gt_i32_e64 s0, 1, v15
	v_lshl_or_b32 v4, v4, 9, 0x7c00
	v_cndmask_b32_e64 v2, v18, v16, s0
	v_cmp_ne_u32_e64 s0, 0, v8
	v_lshrrev_b32_e32 v16, 8, v9
	v_bfe_u32 v18, v9, 20, 11
	v_and_b32_e32 v19, 7, v2
	v_cndmask_b32_e64 v8, 0, 1, s0
	v_cmp_gt_i32_e64 s0, 31, v22
	v_lshrrev_b32_e32 v2, 2, v2
	v_cmp_eq_u32_e64 s1, 3, v19
	v_and_or_b32 v8, 0xffe, v16, v8
	v_cndmask_b32_e64 v14, 0x7c00, v14, s0
	v_cmp_eq_u32_e64 s0, 0x40f, v22
	v_sub_nc_u32_e32 v16, 0x3f1, v18
	v_lshrrev_b32_e32 v22, 16, v3
	v_or_b32_e32 v21, 0x1000, v8
	v_cndmask_b32_e64 v14, v14, v4, s0
	v_cmp_lt_i32_e64 s0, 5, v19
	v_med3_i32 v16, v16, 0, 13
	v_mul_f64 v[4:5], v[6:7], s[4:5]
	v_mul_f16_sdwa v6, v32, v22 dst_sel:DWORD dst_unused:UNUSED_PAD src0_sel:WORD_1 src1_sel:DWORD
	v_and_or_b32 v14, 0x8000, v20, v14
	s_or_b32 s0, s1, s0
	v_lshrrev_b32_e32 v19, v16, v21
	v_add_co_ci_u32_e64 v2, s0, 0, v2, s0
	v_cmp_ne_u32_e64 s0, 0, v10
	v_fmac_f16_e32 v6, v32, v3
	v_lshlrev_b32_e32 v10, v16, v19
	v_add_nc_u32_e32 v16, 0xfffffc10, v18
	s_mul_hi_u32 s1, s8, 0x46
	v_cndmask_b32_e64 v7, 0, 1, s0
	v_cmp_gt_i32_e64 s0, 31, v15
	v_cvt_f32_f16_e32 v6, v6
	v_and_b32_e32 v14, 0xffff, v14
	v_mul_f16_sdwa v3, v32, v3 dst_sel:DWORD dst_unused:UNUSED_PAD src0_sel:WORD_1 src1_sel:DWORD
	v_lshl_or_b32 v7, v7, 9, 0x7c00
	v_cndmask_b32_e64 v2, 0x7c00, v2, s0
	v_cmp_ne_u32_e64 s0, v10, v21
	v_lshrrev_b32_e32 v20, 16, v9
	v_fma_f16 v3, v32, v22, -v3
	v_and_or_b32 v4, 0x1ff, v5, v4
	v_cndmask_b32_e64 v10, 0, 1, s0
	v_cmp_eq_u32_e64 s0, 0x40f, v15
	v_lshl_or_b32 v15, v16, 12, v8
	v_or_b32_e32 v10, v19, v10
	v_cndmask_b32_e64 v2, v2, v7, s0
	v_cvt_f64_f32_e32 v[6:7], v6
	v_cmp_gt_i32_e64 s0, 1, v16
	v_and_or_b32 v2, 0x8000, v11, v2
	v_lshrrev_b32_e32 v11, 8, v5
	v_cndmask_b32_e64 v10, v15, v10, s0
	v_cmp_ne_u32_e64 s0, 0, v4
	v_bfe_u32 v15, v5, 20, 11
	v_lshl_or_b32 v14, v2, 16, v14
	v_and_b32_e32 v18, 7, v10
	v_cndmask_b32_e64 v4, 0, 1, s0
	s_mul_i32 s0, s9, 0x46
	v_lshrrev_b32_e32 v10, 2, v10
	s_add_i32 s3, s1, s0
	v_cmp_lt_i32_e64 s0, 5, v18
	v_and_or_b32 v4, 0xffe, v11, v4
	v_sub_nc_u32_e32 v11, 0x3f1, v15
	v_cmp_eq_u32_e64 s1, 3, v18
	ds_read_b32 v18, v30 offset:1120
	v_add_nc_u32_e32 v15, 0xfffffc10, v15
	v_mul_f64 v[6:7], v[6:7], s[4:5]
	v_or_b32_e32 v19, 0x1000, v4
	v_med3_i32 v11, v11, 0, 13
	s_or_b32 s0, s1, s0
	s_lshl_b64 s[6:7], s[2:3], 2
	v_add_co_ci_u32_e64 v10, s0, 0, v10, s0
	v_lshrrev_b32_e32 v2, v11, v19
	v_cmp_ne_u32_e64 s0, 0, v8
	v_lshlrev_b32_e32 v11, v11, v2
	v_cndmask_b32_e64 v8, 0, 1, s0
	v_cmp_gt_i32_e64 s0, 31, v16
	v_lshl_or_b32 v8, v8, 9, 0x7c00
	v_cndmask_b32_e64 v10, 0x7c00, v10, s0
	v_cmp_ne_u32_e64 s0, v11, v19
	v_and_or_b32 v6, 0x1ff, v7, v6
	v_bfe_u32 v19, v7, 20, 11
	v_cndmask_b32_e64 v11, 0, 1, s0
	v_cmp_eq_u32_e64 s0, 0x40f, v16
	v_lshrrev_b32_e32 v16, 8, v7
	v_lshrrev_b32_e32 v7, 16, v7
	v_cndmask_b32_e64 v10, v10, v8, s0
	v_cmp_ne_u32_e64 s0, 0, v6
	v_or_b32_e32 v8, v2, v11
	v_cvt_f32_f16_e32 v2, v3
	v_lshl_or_b32 v11, v15, 12, v4
	v_and_or_b32 v20, 0x8000, v20, v10
	v_cndmask_b32_e64 v6, 0, 1, s0
	v_cmp_gt_i32_e64 s0, 1, v15
	v_cvt_f64_f32_e32 v[2:3], v2
	v_and_or_b32 v6, 0xffe, v16, v6
	v_cndmask_b32_e64 v11, v11, v8, s0
	v_sub_nc_u32_e32 v8, 0x3f1, v19
	s_waitcnt lgkmcnt(0)
	v_lshrrev_b32_e32 v16, 16, v18
	v_add_nc_u32_e32 v19, 0xfffffc10, v19
	v_or_b32_e32 v22, 0x1000, v6
	v_and_b32_e32 v21, 7, v11
	v_med3_i32 v23, v8, 0, 13
	v_mul_f16_sdwa v24, v31, v16 dst_sel:DWORD dst_unused:UNUSED_PAD src0_sel:WORD_1 src1_sel:DWORD
	v_add_co_u32 v8, s0, v0, s6
	v_add_co_ci_u32_e64 v9, s0, s7, v1, s0
	v_lshrrev_b32_e32 v25, v23, v22
	v_fmac_f16_e32 v24, v31, v18
	v_cmp_lt_i32_e64 s0, 5, v21
	v_cmp_eq_u32_e64 s1, 3, v21
	v_lshrrev_b32_e32 v10, 2, v11
	v_lshlrev_b32_e32 v21, v23, v25
	v_cvt_f32_f16_e32 v11, v24
	v_mul_f64 v[2:3], v[2:3], s[4:5]
	s_or_b32 s0, s1, s0
	v_mul_f16_sdwa v18, v31, v18 dst_sel:DWORD dst_unused:UNUSED_PAD src0_sel:WORD_1 src1_sel:DWORD
	v_add_co_ci_u32_e64 v23, s0, 0, v10, s0
	v_cmp_ne_u32_e64 s0, v21, v22
	v_cvt_f64_f32_e32 v[10:11], v11
	v_lshl_or_b32 v22, v19, 12, v6
	v_fma_f16 v16, v31, v16, -v18
	v_cndmask_b32_e64 v21, 0, 1, s0
	v_cmp_ne_u32_e64 s0, 0, v4
	v_cvt_f32_f16_e32 v16, v16
	v_or_b32_e32 v21, v25, v21
	v_cndmask_b32_e64 v4, 0, 1, s0
	v_cmp_gt_i32_e64 s0, 31, v15
	v_lshl_or_b32 v4, v4, 9, 0x7c00
	v_cndmask_b32_e64 v18, 0x7c00, v23, s0
	v_cmp_gt_i32_e64 s0, 1, v19
	v_and_or_b32 v2, 0x1ff, v3, v2
	v_bfe_u32 v23, v3, 20, 11
	v_cndmask_b32_e64 v21, v22, v21, s0
	v_cmp_eq_u32_e64 s0, 0x40f, v15
	v_mul_f64 v[10:11], v[10:11], s[4:5]
	v_lshrrev_b32_e32 v22, 8, v3
	v_lshrrev_b32_e32 v3, 16, v3
	v_cndmask_b32_e64 v15, v18, v4, s0
	v_lshrrev_b32_e32 v18, 16, v5
	v_cvt_f64_f32_e32 v[4:5], v16
	v_cmp_ne_u32_e64 s0, 0, v2
	v_and_b32_e32 v16, 7, v21
	v_and_or_b32 v15, 0x8000, v18, v15
	v_and_b32_e32 v18, 0xffff, v20
	v_cndmask_b32_e64 v2, 0, 1, s0
	v_cmp_lt_i32_e64 s0, 5, v16
	v_cmp_eq_u32_e64 s1, 3, v16
	v_lshrrev_b32_e32 v16, 2, v21
	v_sub_nc_u32_e32 v20, 0x3f1, v23
	v_and_or_b32 v2, 0xffe, v22, v2
	v_lshl_or_b32 v15, v15, 16, v18
	s_or_b32 s0, s1, s0
	v_add_co_ci_u32_e64 v16, s0, 0, v16, s0
	v_or_b32_e32 v18, 0x1000, v2
	v_med3_i32 v20, v20, 0, 13
	v_cmp_ne_u32_e64 s0, 0, v6
	v_and_or_b32 v10, 0x1ff, v11, v10
	v_lshrrev_b32_e32 v22, 8, v11
	v_mul_f64 v[4:5], v[4:5], s[4:5]
	v_lshrrev_b32_e32 v21, v20, v18
	v_cndmask_b32_e64 v6, 0, 1, s0
	v_cmp_gt_i32_e64 s0, 31, v19
	v_bfe_u32 v24, v11, 20, 11
	v_lshrrev_b32_e32 v11, 16, v11
	v_lshlrev_b32_e32 v20, v20, v21
	v_lshl_or_b32 v6, v6, 9, 0x7c00
	v_cndmask_b32_e64 v16, 0x7c00, v16, s0
	v_cmp_ne_u32_e64 s0, 0, v10
	v_cndmask_b32_e64 v10, 0, 1, s0
	v_cmp_ne_u32_e64 s0, v20, v18
	v_add_nc_u32_e32 v20, 0xfffffc10, v23
	v_and_or_b32 v10, 0xffe, v22, v10
	v_cndmask_b32_e64 v18, 0, 1, s0
	v_sub_nc_u32_e32 v22, 0x3f1, v24
	v_cmp_eq_u32_e64 s0, 0x40f, v19
	v_and_or_b32 v4, 0x1ff, v5, v4
	v_or_b32_e32 v19, 0x1000, v10
	v_bfe_u32 v23, v5, 20, 11
	v_cndmask_b32_e64 v6, v16, v6, s0
	v_or_b32_e32 v16, v21, v18
	v_lshl_or_b32 v18, v20, 12, v2
	v_med3_i32 v21, v22, 0, 13
	v_cmp_gt_i32_e64 s0, 1, v20
	v_lshrrev_b32_e32 v22, 8, v5
	v_and_or_b32 v6, 0x8000, v7, v6
	v_sub_nc_u32_e32 v7, 0x3f1, v23
	v_cndmask_b32_e64 v16, v18, v16, s0
	v_lshrrev_b32_e32 v18, v21, v19
	v_cmp_ne_u32_e64 s0, 0, v4
	v_med3_i32 v7, v7, 0, 13
	v_and_b32_e32 v25, 7, v16
	v_lshlrev_b32_e32 v21, v21, v18
	v_cndmask_b32_e64 v4, 0, 1, s0
	v_lshrrev_b32_e32 v16, 2, v16
	v_cmp_lt_i32_e64 s0, 5, v25
	v_cmp_ne_u32_e64 s1, v21, v19
	v_and_or_b32 v4, 0xffe, v22, v4
	v_add_nc_u32_e32 v22, 0xfffffc10, v24
	v_cndmask_b32_e64 v19, 0, 1, s1
	v_cmp_eq_u32_e64 s1, 3, v25
	v_or_b32_e32 v21, 0x1000, v4
	v_lshl_or_b32 v24, v22, 12, v10
	v_or_b32_e32 v18, v18, v19
	s_or_b32 s0, s1, s0
	v_lshrrev_b32_e32 v19, v7, v21
	v_add_co_ci_u32_e64 v16, s0, 0, v16, s0
	v_cmp_gt_i32_e64 s0, 1, v22
	v_lshlrev_b32_e32 v7, v7, v19
	v_cndmask_b32_e64 v18, v24, v18, s0
	v_cmp_ne_u32_e64 s0, 0, v2
	v_cndmask_b32_e64 v2, 0, 1, s0
	v_cmp_ne_u32_e64 s0, v7, v21
	v_add_nc_u32_e32 v21, 0xfffffc10, v23
	v_and_b32_e32 v23, 7, v18
	v_lshl_or_b32 v2, v2, 9, 0x7c00
	v_cndmask_b32_e64 v7, 0, 1, s0
	v_cmp_gt_i32_e64 s0, 31, v20
	v_cmp_gt_i32_e64 s2, 1, v21
	v_cmp_eq_u32_e64 s1, 3, v23
	v_or_b32_e32 v7, v19, v7
	v_lshl_or_b32 v19, v21, 12, v4
	v_cndmask_b32_e64 v16, 0x7c00, v16, s0
	v_cmp_lt_i32_e64 s0, 5, v23
	v_cndmask_b32_e64 v7, v19, v7, s2
	v_cmp_eq_u32_e64 s2, 0x40f, v20
	s_or_b32 s0, s1, s0
	v_cndmask_b32_e64 v2, v16, v2, s2
	v_lshrrev_b32_e32 v16, 2, v18
	v_and_b32_e32 v18, 7, v7
	v_lshrrev_b32_e32 v7, 2, v7
	v_cmp_gt_i32_e64 s2, 31, v22
	v_and_or_b32 v2, 0x8000, v3, v2
	v_add_co_ci_u32_e64 v16, s0, 0, v16, s0
	v_cmp_ne_u32_e64 s0, 0, v10
	v_cmp_eq_u32_e64 s1, 3, v18
	v_and_b32_e32 v3, 0xffff, v6
	v_cndmask_b32_e64 v16, 0x7c00, v16, s2
	v_cndmask_b32_e64 v10, 0, 1, s0
	v_cmp_lt_i32_e64 s0, 5, v18
	v_lshl_or_b32 v10, v10, 9, 0x7c00
	s_or_b32 s0, s1, s0
	v_add_co_ci_u32_e64 v7, s0, 0, v7, s0
	v_cmp_ne_u32_e64 s0, 0, v4
	v_cndmask_b32_e64 v4, 0, 1, s0
	v_cmp_eq_u32_e64 s0, 0x40f, v22
	v_lshl_or_b32 v4, v4, 9, 0x7c00
	v_cndmask_b32_e64 v10, v16, v10, s0
	v_cmp_gt_i32_e64 s0, 31, v21
	v_and_or_b32 v6, 0x8000, v11, v10
	v_cndmask_b32_e64 v7, 0x7c00, v7, s0
	v_cmp_eq_u32_e64 s0, 0x40f, v21
	v_lshrrev_b32_e32 v10, 16, v5
	v_lshl_or_b32 v11, v2, 16, v3
	v_and_b32_e32 v3, 0xffff, v6
	v_cndmask_b32_e64 v7, v7, v4, s0
	v_add_co_u32 v4, s0, v8, s6
	v_add_co_ci_u32_e64 v5, s0, s7, v9, s0
	v_and_or_b32 v2, 0x8000, v10, v7
	v_add_co_u32 v6, s0, v4, s6
	v_add_co_ci_u32_e64 v7, s0, s7, v5, s0
	v_lshl_or_b32 v10, v2, 16, v3
	v_add_co_u32 v2, s0, v6, s6
	v_add_co_ci_u32_e64 v3, s0, s7, v7, s0
	global_store_dword v[0:1], v17, off
	global_store_dword v[8:9], v14, off
	;; [unrolled: 1-line block ×5, first 2 shown]
	s_and_b32 exec_lo, exec_lo, vcc_lo
	s_cbranch_execz .LBB0_23
; %bb.22:
	s_clause 0x4
	global_load_dword v8, v[12:13], off offset:200
	global_load_dword v9, v[12:13], off offset:480
	;; [unrolled: 1-line block ×5, first 2 shown]
	v_add_nc_u32_e32 v4, 0x200, v30
	v_mad_u64_u32 v[2:3], null, 0xfffffc68, s8, v[2:3]
	ds_read2_b32 v[0:1], v30 offset0:50 offset1:120
	ds_read_b32 v13, v30 offset:1320
	ds_read2_b32 v[4:5], v4 offset0:62 offset1:132
	s_mul_i32 s0, s9, 0xfffffc68
	s_sub_i32 s0, s0, s8
	v_add_nc_u32_e32 v3, s0, v3
	v_add_co_u32 v6, vcc_lo, v2, s6
	v_add_co_ci_u32_e32 v7, vcc_lo, s7, v3, vcc_lo
	s_waitcnt lgkmcnt(2)
	v_lshrrev_b32_e32 v14, 16, v0
	v_lshrrev_b32_e32 v15, 16, v1
	s_waitcnt lgkmcnt(0)
	v_lshrrev_b32_e32 v17, 16, v4
	v_lshrrev_b32_e32 v18, 16, v5
	;; [unrolled: 1-line block ×3, first 2 shown]
	s_waitcnt vmcnt(4)
	v_mul_f16_sdwa v19, v14, v8 dst_sel:DWORD dst_unused:UNUSED_PAD src0_sel:DWORD src1_sel:WORD_1
	v_mul_f16_sdwa v20, v0, v8 dst_sel:DWORD dst_unused:UNUSED_PAD src0_sel:DWORD src1_sel:WORD_1
	s_waitcnt vmcnt(3)
	v_mul_f16_sdwa v21, v15, v9 dst_sel:DWORD dst_unused:UNUSED_PAD src0_sel:DWORD src1_sel:WORD_1
	v_mul_f16_sdwa v22, v1, v9 dst_sel:DWORD dst_unused:UNUSED_PAD src0_sel:DWORD src1_sel:WORD_1
	s_waitcnt vmcnt(2)
	v_mul_f16_sdwa v23, v17, v10 dst_sel:DWORD dst_unused:UNUSED_PAD src0_sel:DWORD src1_sel:WORD_1
	v_fmac_f16_e32 v19, v0, v8
	v_fma_f16 v0, v8, v14, -v20
	v_fmac_f16_e32 v21, v1, v9
	v_mul_f16_sdwa v24, v4, v10 dst_sel:DWORD dst_unused:UNUSED_PAD src0_sel:DWORD src1_sel:WORD_1
	s_waitcnt vmcnt(1)
	v_mul_f16_sdwa v25, v18, v11 dst_sel:DWORD dst_unused:UNUSED_PAD src0_sel:DWORD src1_sel:WORD_1
	v_cvt_f32_f16_e32 v1, v19
	v_cvt_f32_f16_e32 v8, v0
	v_mul_f16_sdwa v26, v5, v11 dst_sel:DWORD dst_unused:UNUSED_PAD src0_sel:DWORD src1_sel:WORD_1
	v_fma_f16 v15, v9, v15, -v22
	v_fmac_f16_e32 v23, v4, v10
	v_cvt_f64_f32_e32 v[0:1], v1
	v_cvt_f32_f16_e32 v4, v21
	v_cvt_f64_f32_e32 v[8:9], v8
	s_waitcnt vmcnt(0)
	v_mul_f16_sdwa v14, v16, v12 dst_sel:DWORD dst_unused:UNUSED_PAD src0_sel:DWORD src1_sel:WORD_1
	v_mul_f16_sdwa v20, v13, v12 dst_sel:DWORD dst_unused:UNUSED_PAD src0_sel:DWORD src1_sel:WORD_1
	v_fma_f16 v10, v10, v17, -v24
	v_fmac_f16_e32 v25, v5, v11
	v_fma_f16 v17, v11, v18, -v26
	v_cvt_f32_f16_e32 v11, v15
	v_cvt_f64_f32_e32 v[4:5], v4
	v_fmac_f16_e32 v14, v13, v12
	v_fma_f16 v12, v12, v16, -v20
	v_cvt_f32_f16_e32 v13, v23
	v_cvt_f32_f16_e32 v15, v10
	v_cvt_f64_f32_e32 v[10:11], v11
	v_cvt_f32_f16_e32 v16, v25
	v_cvt_f32_f16_e32 v22, v12
	v_cvt_f64_f32_e32 v[12:13], v13
	v_cvt_f32_f16_e32 v20, v14
	v_cvt_f64_f32_e32 v[14:15], v15
	;; [unrolled: 2-line block ×3, first 2 shown]
	v_mul_f64 v[0:1], v[0:1], s[4:5]
	v_add_co_u32 v24, vcc_lo, v6, s6
	v_mul_f64 v[8:9], v[8:9], s[4:5]
	v_cvt_f64_f32_e32 v[18:19], v18
	v_add_co_ci_u32_e32 v25, vcc_lo, s7, v7, vcc_lo
	v_cvt_f64_f32_e32 v[20:21], v20
	v_add_co_u32 v26, vcc_lo, v24, s6
	v_mul_f64 v[4:5], v[4:5], s[4:5]
	v_add_co_ci_u32_e32 v27, vcc_lo, s7, v25, vcc_lo
	v_cvt_f64_f32_e32 v[22:23], v22
	v_mul_f64 v[10:11], v[10:11], s[4:5]
	v_add_co_u32 v28, vcc_lo, v26, s6
	v_mul_f64 v[12:13], v[12:13], s[4:5]
	v_add_co_ci_u32_e32 v29, vcc_lo, s7, v27, vcc_lo
	v_mul_f64 v[14:15], v[14:15], s[4:5]
	v_mul_f64 v[16:17], v[16:17], s[4:5]
	v_and_or_b32 v0, 0x1ff, v1, v0
	v_lshrrev_b32_e32 v30, 8, v1
	v_bfe_u32 v31, v1, 20, 11
	v_and_or_b32 v8, 0x1ff, v9, v8
	v_mul_f64 v[18:19], v[18:19], s[4:5]
	v_cmp_ne_u32_e32 vcc_lo, 0, v0
	v_lshrrev_b32_e32 v32, 8, v9
	v_mul_f64 v[20:21], v[20:21], s[4:5]
	v_bfe_u32 v33, v9, 20, 11
	v_sub_nc_u32_e32 v50, 0x3f1, v31
	v_and_or_b32 v4, 0x1ff, v5, v4
	v_cndmask_b32_e64 v0, 0, 1, vcc_lo
	v_cmp_ne_u32_e32 vcc_lo, 0, v8
	v_mul_f64 v[22:23], v[22:23], s[4:5]
	v_and_or_b32 v10, 0x1ff, v11, v10
	v_lshrrev_b32_e32 v34, 8, v5
	v_and_or_b32 v0, 0xffe, v30, v0
	v_cndmask_b32_e64 v8, 0, 1, vcc_lo
	v_cmp_ne_u32_e32 vcc_lo, 0, v4
	v_and_or_b32 v12, 0x1ff, v13, v12
	v_and_or_b32 v14, 0x1ff, v15, v14
	;; [unrolled: 1-line block ×3, first 2 shown]
	v_bfe_u32 v35, v5, 20, 11
	v_cndmask_b32_e64 v4, 0, 1, vcc_lo
	v_cmp_ne_u32_e32 vcc_lo, 0, v10
	v_bfe_u32 v37, v11, 20, 11
	v_and_or_b32 v18, 0x1ff, v19, v18
	v_add_nc_u32_e32 v31, 0xfffffc10, v31
	v_sub_nc_u32_e32 v51, 0x3f1, v33
	v_cndmask_b32_e64 v10, 0, 1, vcc_lo
	v_cmp_ne_u32_e32 vcc_lo, 0, v12
	v_and_or_b32 v20, 0x1ff, v21, v20
	v_and_or_b32 v8, 0xffe, v32, v8
	v_lshrrev_b32_e32 v36, 8, v11
	v_bfe_u32 v39, v13, 20, 11
	v_cndmask_b32_e64 v12, 0, 1, vcc_lo
	v_cmp_ne_u32_e32 vcc_lo, 0, v14
	v_and_or_b32 v22, 0x1ff, v23, v22
	v_bfe_u32 v41, v15, 20, 11
	v_add_nc_u32_e32 v33, 0xfffffc10, v33
	v_sub_nc_u32_e32 v52, 0x3f1, v35
	v_cndmask_b32_e64 v14, 0, 1, vcc_lo
	v_cmp_ne_u32_e32 vcc_lo, 0, v16
	v_sub_nc_u32_e32 v53, 0x3f1, v37
	v_med3_i32 v30, v50, 0, 13
	v_med3_i32 v32, v51, 0, 13
	v_and_or_b32 v4, 0xffe, v34, v4
	v_cndmask_b32_e64 v16, 0, 1, vcc_lo
	v_cmp_ne_u32_e32 vcc_lo, 0, v18
	v_or_b32_e32 v50, 0x1000, v0
	v_lshl_or_b32 v51, v31, 12, v0
	v_lshrrev_b32_e32 v38, 8, v13
	v_lshrrev_b32_e32 v40, 8, v15
	v_cndmask_b32_e64 v18, 0, 1, vcc_lo
	v_cmp_ne_u32_e32 vcc_lo, 0, v20
	v_bfe_u32 v43, v17, 20, 11
	v_bfe_u32 v45, v19, 20, 11
	v_add_nc_u32_e32 v35, 0xfffffc10, v35
	v_sub_nc_u32_e32 v54, 0x3f1, v39
	v_cndmask_b32_e64 v20, 0, 1, vcc_lo
	v_cmp_ne_u32_e32 vcc_lo, 0, v22
	v_sub_nc_u32_e32 v55, 0x3f1, v41
	v_med3_i32 v34, v52, 0, 13
	v_and_or_b32 v10, 0xffe, v36, v10
	v_med3_i32 v36, v53, 0, 13
	v_cndmask_b32_e64 v22, 0, 1, vcc_lo
	v_cmp_ne_u32_e32 vcc_lo, 0, v0
	v_or_b32_e32 v52, 0x1000, v8
	v_lshl_or_b32 v53, v33, 12, v8
	v_lshrrev_b32_e32 v42, 8, v17
	v_lshrrev_b32_e32 v44, 8, v19
	v_cndmask_b32_e64 v0, 0, 1, vcc_lo
	v_cmp_ne_u32_e32 vcc_lo, 0, v8
	v_bfe_u32 v47, v21, 20, 11
	v_bfe_u32 v49, v23, 20, 11
	v_add_nc_u32_e32 v37, 0xfffffc10, v37
	v_sub_nc_u32_e32 v56, 0x3f1, v43
	v_cndmask_b32_e64 v8, 0, 1, vcc_lo
	v_cmp_ne_u32_e32 vcc_lo, 0, v4
	v_sub_nc_u32_e32 v57, 0x3f1, v45
	v_and_or_b32 v12, 0xffe, v38, v12
	v_med3_i32 v38, v54, 0, 13
	v_and_or_b32 v14, 0xffe, v40, v14
	v_med3_i32 v40, v55, 0, 13
	v_or_b32_e32 v54, 0x1000, v4
	v_lshl_or_b32 v55, v35, 12, v4
	v_cndmask_b32_e64 v4, 0, 1, vcc_lo
	v_cmp_ne_u32_e32 vcc_lo, 0, v10
	v_lshrrev_b32_e32 v46, 8, v21
	v_lshrrev_b32_e32 v48, 8, v23
	v_add_nc_u32_e32 v39, 0xfffffc10, v39
	v_sub_nc_u32_e32 v58, 0x3f1, v47
	v_sub_nc_u32_e32 v59, 0x3f1, v49
	v_and_or_b32 v16, 0xffe, v42, v16
	v_med3_i32 v42, v56, 0, 13
	v_and_or_b32 v18, 0xffe, v44, v18
	v_med3_i32 v44, v57, 0, 13
	v_or_b32_e32 v56, 0x1000, v10
	v_lshl_or_b32 v57, v37, 12, v10
	v_cndmask_b32_e64 v10, 0, 1, vcc_lo
	v_cmp_ne_u32_e32 vcc_lo, 0, v12
	v_add_nc_u32_e32 v41, 0xfffffc10, v41
	v_and_or_b32 v20, 0xffe, v46, v20
	v_med3_i32 v46, v58, 0, 13
	v_and_or_b32 v22, 0xffe, v48, v22
	v_med3_i32 v48, v59, 0, 13
	v_or_b32_e32 v58, 0x1000, v12
	v_lshl_or_b32 v59, v39, 12, v12
	v_cndmask_b32_e64 v12, 0, 1, vcc_lo
	v_cmp_ne_u32_e32 vcc_lo, 0, v14
	v_add_nc_u32_e32 v43, 0xfffffc10, v43
	v_or_b32_e32 v60, 0x1000, v14
	v_lshl_or_b32 v61, v41, 12, v14
	v_add_nc_u32_e32 v45, 0xfffffc10, v45
	v_cndmask_b32_e64 v14, 0, 1, vcc_lo
	v_cmp_ne_u32_e32 vcc_lo, 0, v16
	v_or_b32_e32 v62, 0x1000, v16
	v_lshl_or_b32 v63, v43, 12, v16
	v_add_nc_u32_e32 v47, 0xfffffc10, v47
	v_or_b32_e32 v64, 0x1000, v18
	v_cndmask_b32_e64 v16, 0, 1, vcc_lo
	v_cmp_ne_u32_e32 vcc_lo, 0, v18
	v_lshl_or_b32 v65, v45, 12, v18
	v_lshrrev_b32_e32 v70, v30, v50
	v_add_nc_u32_e32 v49, 0xfffffc10, v49
	v_or_b32_e32 v66, 0x1000, v20
	v_cndmask_b32_e64 v18, 0, 1, vcc_lo
	v_cmp_ne_u32_e32 vcc_lo, 0, v20
	v_lshl_or_b32 v67, v47, 12, v20
	v_lshrrev_b32_e32 v71, v32, v52
	v_lshlrev_b32_e32 v30, v30, v70
	v_or_b32_e32 v68, 0x1000, v22
	v_cndmask_b32_e64 v20, 0, 1, vcc_lo
	v_cmp_ne_u32_e32 vcc_lo, 0, v22
	v_lshl_or_b32 v69, v49, 12, v22
	v_lshrrev_b32_e32 v72, v34, v54
	v_lshlrev_b32_e32 v32, v32, v71
	v_lshrrev_b32_e32 v73, v36, v56
	v_cndmask_b32_e64 v22, 0, 1, vcc_lo
	v_cmp_ne_u32_e32 vcc_lo, v30, v50
	v_lshlrev_b32_e32 v34, v34, v72
	v_lshrrev_b32_e32 v74, v38, v58
	v_lshlrev_b32_e32 v36, v36, v73
	v_lshrrev_b32_e32 v75, v40, v60
	v_cndmask_b32_e64 v30, 0, 1, vcc_lo
	v_cmp_ne_u32_e32 vcc_lo, v32, v52
	v_lshlrev_b32_e32 v38, v38, v74
	;; [unrolled: 6-line block ×4, first 2 shown]
	v_or_b32_e32 v30, v70, v30
	v_lshlrev_b32_e32 v48, v48, v79
	v_or_b32_e32 v32, v71, v32
	v_cndmask_b32_e64 v36, 0, 1, vcc_lo
	v_cmp_ne_u32_e32 vcc_lo, v38, v58
	v_or_b32_e32 v34, v72, v34
	v_lshl_or_b32 v0, v0, 9, 0x7c00
	v_lshl_or_b32 v8, v8, 9, 0x7c00
	v_or_b32_e32 v36, v73, v36
	v_cndmask_b32_e64 v38, 0, 1, vcc_lo
	v_cmp_ne_u32_e32 vcc_lo, v40, v60
	v_lshl_or_b32 v4, v4, 9, 0x7c00
	v_lshl_or_b32 v10, v10, 9, 0x7c00
	v_lshl_or_b32 v12, v12, 9, 0x7c00
	v_or_b32_e32 v38, v74, v38
	v_cndmask_b32_e64 v40, 0, 1, vcc_lo
	v_cmp_ne_u32_e32 vcc_lo, v42, v62
	v_lshl_or_b32 v14, v14, 9, 0x7c00
	;; [unrolled: 6-line block ×3, first 2 shown]
	v_lshrrev_b32_e32 v1, 16, v1
	v_lshrrev_b32_e32 v5, 16, v5
	v_or_b32_e32 v42, v76, v42
	v_cndmask_b32_e64 v44, 0, 1, vcc_lo
	v_cmp_ne_u32_e32 vcc_lo, v46, v66
	v_lshrrev_b32_e32 v9, 16, v9
	v_lshrrev_b32_e32 v13, 16, v13
	;; [unrolled: 1-line block ×3, first 2 shown]
	v_or_b32_e32 v44, v77, v44
	v_cndmask_b32_e64 v46, 0, 1, vcc_lo
	v_cmp_ne_u32_e32 vcc_lo, v48, v68
	v_lshrrev_b32_e32 v17, 16, v17
	v_lshrrev_b32_e32 v21, 16, v21
	v_lshl_or_b32 v22, v22, 9, 0x7c00
	v_or_b32_e32 v46, v78, v46
	v_cndmask_b32_e64 v48, 0, 1, vcc_lo
	v_cmp_gt_i32_e32 vcc_lo, 1, v31
	v_lshrrev_b32_e32 v15, 16, v15
	v_lshrrev_b32_e32 v19, 16, v19
	;; [unrolled: 1-line block ×3, first 2 shown]
	v_or_b32_e32 v48, v79, v48
	v_cndmask_b32_e32 v30, v51, v30, vcc_lo
	v_cmp_gt_i32_e32 vcc_lo, 1, v33
	v_and_b32_e32 v50, 7, v30
	v_cndmask_b32_e32 v32, v53, v32, vcc_lo
	v_cmp_gt_i32_e32 vcc_lo, 1, v35
	v_lshrrev_b32_e32 v30, 2, v30
	v_cmp_eq_u32_e64 s0, 3, v50
	v_and_b32_e32 v51, 7, v32
	v_cndmask_b32_e32 v34, v55, v34, vcc_lo
	v_cmp_gt_i32_e32 vcc_lo, 1, v37
	v_lshrrev_b32_e32 v32, 2, v32
	v_cmp_lt_i32_e64 s1, 5, v51
	v_and_b32_e32 v52, 7, v34
	v_cndmask_b32_e32 v36, v57, v36, vcc_lo
	v_cmp_gt_i32_e32 vcc_lo, 1, v39
	v_cmp_eq_u32_e64 s2, 3, v51
	v_lshrrev_b32_e32 v34, 2, v34
	v_cmp_lt_i32_e64 s3, 5, v52
	v_and_b32_e32 v53, 7, v36
	v_cndmask_b32_e32 v38, v59, v38, vcc_lo
	v_cmp_gt_i32_e32 vcc_lo, 1, v41
	v_cmp_eq_u32_e64 s4, 3, v52
	;; [unrolled: 6-line block ×6, first 2 shown]
	v_lshrrev_b32_e32 v44, 2, v44
	v_cmp_lt_i32_e64 s13, 5, v57
	v_and_b32_e32 v58, 7, v46
	v_cndmask_b32_e32 v48, v69, v48, vcc_lo
	v_cmp_lt_i32_e32 vcc_lo, 5, v50
	v_cmp_eq_u32_e64 s14, 3, v57
	v_lshrrev_b32_e32 v46, 2, v46
	v_cmp_lt_i32_e64 s15, 5, v58
	v_and_b32_e32 v59, 7, v48
	s_or_b32 vcc_lo, s0, vcc_lo
	v_cmp_eq_u32_e64 s16, 3, v58
	v_add_co_ci_u32_e32 v30, vcc_lo, 0, v30, vcc_lo
	s_or_b32 vcc_lo, s2, s1
	v_cmp_lt_i32_e64 s17, 5, v59
	v_add_co_ci_u32_e32 v32, vcc_lo, 0, v32, vcc_lo
	s_or_b32 vcc_lo, s4, s3
	v_cmp_eq_u32_e64 s18, 3, v59
	v_add_co_ci_u32_e32 v34, vcc_lo, 0, v34, vcc_lo
	s_or_b32 vcc_lo, s6, s5
	v_lshrrev_b32_e32 v48, 2, v48
	v_add_co_ci_u32_e32 v36, vcc_lo, 0, v36, vcc_lo
	s_or_b32 vcc_lo, s8, s7
	v_add_co_ci_u32_e32 v38, vcc_lo, 0, v38, vcc_lo
	s_or_b32 vcc_lo, s10, s9
	;; [unrolled: 2-line block ×6, first 2 shown]
	v_add_co_ci_u32_e32 v48, vcc_lo, 0, v48, vcc_lo
	v_cmp_gt_i32_e32 vcc_lo, 31, v31
	v_cndmask_b32_e32 v30, 0x7c00, v30, vcc_lo
	v_cmp_gt_i32_e32 vcc_lo, 31, v33
	v_cndmask_b32_e32 v32, 0x7c00, v32, vcc_lo
	;; [unrolled: 2-line block ×10, first 2 shown]
	v_cmp_eq_u32_e32 vcc_lo, 0x40f, v31
	v_cndmask_b32_e32 v0, v30, v0, vcc_lo
	v_cmp_eq_u32_e32 vcc_lo, 0x40f, v33
	v_and_or_b32 v0, 0x8000, v1, v0
	v_cndmask_b32_e32 v8, v32, v8, vcc_lo
	v_cmp_eq_u32_e32 vcc_lo, 0x40f, v35
	v_and_b32_e32 v0, 0xffff, v0
	v_and_or_b32 v1, 0x8000, v9, v8
	v_cndmask_b32_e32 v4, v34, v4, vcc_lo
	v_cmp_eq_u32_e32 vcc_lo, 0x40f, v37
	v_lshl_or_b32 v0, v1, 16, v0
	v_and_or_b32 v4, 0x8000, v5, v4
	v_cndmask_b32_e32 v10, v36, v10, vcc_lo
	v_cmp_eq_u32_e32 vcc_lo, 0x40f, v39
	v_and_b32_e32 v4, 0xffff, v4
	v_and_or_b32 v5, 0x8000, v11, v10
	v_cndmask_b32_e32 v12, v38, v12, vcc_lo
	v_cmp_eq_u32_e32 vcc_lo, 0x40f, v41
	v_lshl_or_b32 v1, v5, 16, v4
	;; [unrolled: 8-line block ×4, first 2 shown]
	v_and_or_b32 v12, 0x8000, v21, v20
	v_cndmask_b32_e32 v22, v48, v22, vcc_lo
	v_and_b32_e32 v12, 0xffff, v12
	v_and_or_b32 v13, 0x8000, v23, v22
	v_lshl_or_b32 v8, v13, 16, v12
	global_store_dword v[2:3], v0, off
	global_store_dword v[6:7], v1, off
	;; [unrolled: 1-line block ×5, first 2 shown]
.LBB0_23:
	s_endpgm
	.section	.rodata,"a",@progbits
	.p2align	6, 0x0
	.amdhsa_kernel bluestein_single_fwd_len350_dim1_half_op_CI_CI
		.amdhsa_group_segment_fixed_size 1400
		.amdhsa_private_segment_fixed_size 0
		.amdhsa_kernarg_size 104
		.amdhsa_user_sgpr_count 6
		.amdhsa_user_sgpr_private_segment_buffer 1
		.amdhsa_user_sgpr_dispatch_ptr 0
		.amdhsa_user_sgpr_queue_ptr 0
		.amdhsa_user_sgpr_kernarg_segment_ptr 1
		.amdhsa_user_sgpr_dispatch_id 0
		.amdhsa_user_sgpr_flat_scratch_init 0
		.amdhsa_user_sgpr_private_segment_size 0
		.amdhsa_wavefront_size32 1
		.amdhsa_uses_dynamic_stack 0
		.amdhsa_system_sgpr_private_segment_wavefront_offset 0
		.amdhsa_system_sgpr_workgroup_id_x 1
		.amdhsa_system_sgpr_workgroup_id_y 0
		.amdhsa_system_sgpr_workgroup_id_z 0
		.amdhsa_system_sgpr_workgroup_info 0
		.amdhsa_system_vgpr_workitem_id 0
		.amdhsa_next_free_vgpr 81
		.amdhsa_next_free_sgpr 19
		.amdhsa_reserve_vcc 1
		.amdhsa_reserve_flat_scratch 0
		.amdhsa_float_round_mode_32 0
		.amdhsa_float_round_mode_16_64 0
		.amdhsa_float_denorm_mode_32 3
		.amdhsa_float_denorm_mode_16_64 3
		.amdhsa_dx10_clamp 1
		.amdhsa_ieee_mode 1
		.amdhsa_fp16_overflow 0
		.amdhsa_workgroup_processor_mode 1
		.amdhsa_memory_ordered 1
		.amdhsa_forward_progress 0
		.amdhsa_shared_vgpr_count 0
		.amdhsa_exception_fp_ieee_invalid_op 0
		.amdhsa_exception_fp_denorm_src 0
		.amdhsa_exception_fp_ieee_div_zero 0
		.amdhsa_exception_fp_ieee_overflow 0
		.amdhsa_exception_fp_ieee_underflow 0
		.amdhsa_exception_fp_ieee_inexact 0
		.amdhsa_exception_int_div_zero 0
	.end_amdhsa_kernel
	.text
.Lfunc_end0:
	.size	bluestein_single_fwd_len350_dim1_half_op_CI_CI, .Lfunc_end0-bluestein_single_fwd_len350_dim1_half_op_CI_CI
                                        ; -- End function
	.section	.AMDGPU.csdata,"",@progbits
; Kernel info:
; codeLenInByte = 14376
; NumSgprs: 21
; NumVgprs: 81
; ScratchSize: 0
; MemoryBound: 0
; FloatMode: 240
; IeeeMode: 1
; LDSByteSize: 1400 bytes/workgroup (compile time only)
; SGPRBlocks: 2
; VGPRBlocks: 10
; NumSGPRsForWavesPerEU: 21
; NumVGPRsForWavesPerEU: 81
; Occupancy: 10
; WaveLimiterHint : 1
; COMPUTE_PGM_RSRC2:SCRATCH_EN: 0
; COMPUTE_PGM_RSRC2:USER_SGPR: 6
; COMPUTE_PGM_RSRC2:TRAP_HANDLER: 0
; COMPUTE_PGM_RSRC2:TGID_X_EN: 1
; COMPUTE_PGM_RSRC2:TGID_Y_EN: 0
; COMPUTE_PGM_RSRC2:TGID_Z_EN: 0
; COMPUTE_PGM_RSRC2:TIDIG_COMP_CNT: 0
	.text
	.p2alignl 6, 3214868480
	.fill 48, 4, 3214868480
	.type	__hip_cuid_7fcddc433cbc1bac,@object ; @__hip_cuid_7fcddc433cbc1bac
	.section	.bss,"aw",@nobits
	.globl	__hip_cuid_7fcddc433cbc1bac
__hip_cuid_7fcddc433cbc1bac:
	.byte	0                               ; 0x0
	.size	__hip_cuid_7fcddc433cbc1bac, 1

	.ident	"AMD clang version 19.0.0git (https://github.com/RadeonOpenCompute/llvm-project roc-6.4.0 25133 c7fe45cf4b819c5991fe208aaa96edf142730f1d)"
	.section	".note.GNU-stack","",@progbits
	.addrsig
	.addrsig_sym __hip_cuid_7fcddc433cbc1bac
	.amdgpu_metadata
---
amdhsa.kernels:
  - .args:
      - .actual_access:  read_only
        .address_space:  global
        .offset:         0
        .size:           8
        .value_kind:     global_buffer
      - .actual_access:  read_only
        .address_space:  global
        .offset:         8
        .size:           8
        .value_kind:     global_buffer
      - .actual_access:  read_only
        .address_space:  global
        .offset:         16
        .size:           8
        .value_kind:     global_buffer
      - .actual_access:  read_only
        .address_space:  global
        .offset:         24
        .size:           8
        .value_kind:     global_buffer
      - .actual_access:  read_only
        .address_space:  global
        .offset:         32
        .size:           8
        .value_kind:     global_buffer
      - .offset:         40
        .size:           8
        .value_kind:     by_value
      - .address_space:  global
        .offset:         48
        .size:           8
        .value_kind:     global_buffer
      - .address_space:  global
        .offset:         56
        .size:           8
        .value_kind:     global_buffer
      - .address_space:  global
        .offset:         64
        .size:           8
        .value_kind:     global_buffer
      - .address_space:  global
        .offset:         72
        .size:           8
        .value_kind:     global_buffer
      - .offset:         80
        .size:           4
        .value_kind:     by_value
      - .address_space:  global
        .offset:         88
        .size:           8
        .value_kind:     global_buffer
      - .address_space:  global
        .offset:         96
        .size:           8
        .value_kind:     global_buffer
    .group_segment_fixed_size: 1400
    .kernarg_segment_align: 8
    .kernarg_segment_size: 104
    .language:       OpenCL C
    .language_version:
      - 2
      - 0
    .max_flat_workgroup_size: 50
    .name:           bluestein_single_fwd_len350_dim1_half_op_CI_CI
    .private_segment_fixed_size: 0
    .sgpr_count:     21
    .sgpr_spill_count: 0
    .symbol:         bluestein_single_fwd_len350_dim1_half_op_CI_CI.kd
    .uniform_work_group_size: 1
    .uses_dynamic_stack: false
    .vgpr_count:     81
    .vgpr_spill_count: 0
    .wavefront_size: 32
    .workgroup_processor_mode: 1
amdhsa.target:   amdgcn-amd-amdhsa--gfx1030
amdhsa.version:
  - 1
  - 2
...

	.end_amdgpu_metadata
